;; amdgpu-corpus repo=ROCm/rocFFT kind=compiled arch=gfx906 opt=O3
	.text
	.amdgcn_target "amdgcn-amd-amdhsa--gfx906"
	.amdhsa_code_object_version 6
	.protected	bluestein_single_fwd_len1365_dim1_half_op_CI_CI ; -- Begin function bluestein_single_fwd_len1365_dim1_half_op_CI_CI
	.globl	bluestein_single_fwd_len1365_dim1_half_op_CI_CI
	.p2align	8
	.type	bluestein_single_fwd_len1365_dim1_half_op_CI_CI,@function
bluestein_single_fwd_len1365_dim1_half_op_CI_CI: ; @bluestein_single_fwd_len1365_dim1_half_op_CI_CI
; %bb.0:
	s_load_dwordx4 s[8:11], s[4:5], 0x28
	v_mul_u32_u24_e32 v1, 0x2d1, v0
	v_lshrrev_b32_e32 v1, 16, v1
	v_lshl_add_u32 v22, s6, 1, v1
	v_mov_b32_e32 v23, 0
	s_waitcnt lgkmcnt(0)
	v_cmp_gt_u64_e32 vcc, s[8:9], v[22:23]
	s_and_saveexec_b64 s[0:1], vcc
	s_cbranch_execz .LBB0_23
; %bb.1:
	s_load_dwordx4 s[0:3], s[4:5], 0x18
	v_mul_lo_u16_e32 v2, 0x5b, v1
	v_sub_u16_e32 v81, v0, v2
	s_load_dwordx2 s[6:7], s[4:5], 0x38
	s_waitcnt lgkmcnt(0)
	s_load_dwordx4 s[12:15], s[0:1], 0x0
	s_waitcnt lgkmcnt(0)
	v_mad_u64_u32 v[2:3], s[0:1], s14, v22, 0
	v_mad_u64_u32 v[4:5], s[0:1], s12, v81, 0
	v_mov_b32_e32 v0, v3
	v_mov_b32_e32 v3, v5
	v_mad_u64_u32 v[5:6], s[0:1], s15, v22, v[0:1]
	v_mad_u64_u32 v[6:7], s[0:1], s13, v81, v[3:4]
	v_mov_b32_e32 v3, v5
	v_lshlrev_b64 v[2:3], 2, v[2:3]
	v_mov_b32_e32 v0, s11
	v_mov_b32_e32 v5, v6
	v_add_co_u32_e32 v6, vcc, s10, v2
	s_load_dwordx2 s[14:15], s[4:5], 0x0
	v_addc_co_u32_e32 v0, vcc, v0, v3, vcc
	v_lshlrev_b64 v[2:3], 2, v[4:5]
	v_lshlrev_b32_e32 v5, 2, v81
	v_add_co_u32_e32 v2, vcc, v6, v2
	v_addc_co_u32_e32 v3, vcc, v0, v3, vcc
	global_load_dword v4, v[2:3], off
	s_waitcnt lgkmcnt(0)
	global_load_dword v83, v5, s[14:15]
	v_and_b32_e32 v0, 1, v1
	s_load_dwordx4 s[8:11], s[2:3], 0x0
	s_mul_i32 s1, s13, 0x69
	s_mul_hi_u32 s2, s12, 0x69
	v_mov_b32_e32 v1, 0x555
	v_cmp_eq_u32_e32 vcc, 1, v0
	s_mul_i32 s0, s12, 0x69
	s_add_i32 s1, s2, s1
	v_cndmask_b32_e32 v0, 0, v1, vcc
	s_lshl_b64 s[16:17], s[0:1], 2
	v_lshlrev_b32_e32 v84, 2, v0
	v_mov_b32_e32 v7, s17
	v_add_co_u32_e32 v0, vcc, s16, v2
	v_addc_co_u32_e32 v1, vcc, v3, v7, vcc
	global_load_dword v82, v5, s[14:15] offset:420
	global_load_dword v80, v5, s[14:15] offset:840
	global_load_dword v8, v[0:1], off
	v_add_co_u32_e32 v0, vcc, s16, v0
	v_addc_co_u32_e32 v1, vcc, v1, v7, vcc
	global_load_dword v9, v[0:1], off
	v_add_co_u32_e32 v0, vcc, s16, v0
	v_addc_co_u32_e32 v1, vcc, v1, v7, vcc
	global_load_dword v10, v[0:1], off
	global_load_dword v79, v5, s[14:15] offset:1260
	global_load_dword v78, v5, s[14:15] offset:1680
	;; [unrolled: 1-line block ×7, first 2 shown]
	v_add_co_u32_e32 v0, vcc, s16, v0
	v_addc_co_u32_e32 v1, vcc, v1, v7, vcc
	global_load_dword v11, v[0:1], off
	v_add_co_u32_e32 v0, vcc, s16, v0
	v_addc_co_u32_e32 v1, vcc, v1, v7, vcc
	v_mov_b32_e32 v6, s15
	global_load_dword v12, v[0:1], off
	v_add_co_u32_e64 v20, s[2:3], s14, v5
	v_addc_co_u32_e64 v21, vcc, 0, v6, s[2:3]
	v_add_co_u32_e32 v0, vcc, s16, v0
	v_addc_co_u32_e32 v1, vcc, v1, v7, vcc
	global_load_dword v6, v[0:1], off
	v_add_co_u32_e32 v0, vcc, s16, v0
	v_addc_co_u32_e32 v1, vcc, v1, v7, vcc
	global_load_dword v13, v[0:1], off
	;; [unrolled: 3-line block ×3, first 2 shown]
	v_add_co_u32_e32 v0, vcc, s16, v0
	v_add_u32_e32 v69, v84, v5
	v_addc_co_u32_e32 v1, vcc, v1, v7, vcc
	global_load_dword v15, v[0:1], off
	s_movk_i32 s0, 0x1000
	s_waitcnt vmcnt(19)
	v_lshrrev_b32_e32 v5, 16, v4
	s_waitcnt vmcnt(18)
	v_mul_f16_sdwa v2, v83, v5 dst_sel:DWORD dst_unused:UNUSED_PAD src0_sel:WORD_1 src1_sel:DWORD
	v_fma_f16 v16, v83, v4, v2
	v_add_co_u32_e32 v2, vcc, s16, v0
	v_addc_co_u32_e32 v3, vcc, v1, v7, vcc
	v_add_co_u32_e32 v0, vcc, s0, v20
	global_load_dword v17, v[2:3], off
	v_addc_co_u32_e32 v1, vcc, 0, v21, vcc
	global_load_dword v72, v[0:1], off offset:104
	v_add_co_u32_e32 v2, vcc, s16, v2
	v_addc_co_u32_e32 v3, vcc, v3, v7, vcc
	global_load_dword v18, v[2:3], off
	global_load_dword v71, v[0:1], off offset:524
	v_add_co_u32_e32 v2, vcc, s16, v2
	v_addc_co_u32_e32 v3, vcc, v3, v7, vcc
	global_load_dword v19, v[2:3], off
	global_load_dword v70, v[0:1], off offset:944
	v_mul_f16_sdwa v4, v83, v4 dst_sel:DWORD dst_unused:UNUSED_PAD src0_sel:WORD_1 src1_sel:DWORD
	v_fma_f16 v4, v83, v5, -v4
	s_waitcnt vmcnt(21)
	v_lshrrev_b32_e32 v5, 16, v8
	v_mul_f16_sdwa v7, v82, v5 dst_sel:DWORD dst_unused:UNUSED_PAD src0_sel:WORD_1 src1_sel:DWORD
	v_fma_f16 v7, v82, v8, v7
	v_mul_f16_sdwa v8, v82, v8 dst_sel:DWORD dst_unused:UNUSED_PAD src0_sel:WORD_1 src1_sel:DWORD
	v_fma_f16 v5, v82, v5, -v8
	v_pack_b32_f16 v4, v16, v4
	v_pack_b32_f16 v5, v7, v5
	ds_write2_b32 v69, v4, v5 offset1:105
	s_waitcnt vmcnt(20)
	v_lshrrev_b32_e32 v4, 16, v9
	v_mul_f16_sdwa v5, v80, v4 dst_sel:DWORD dst_unused:UNUSED_PAD src0_sel:WORD_1 src1_sel:DWORD
	v_mul_f16_sdwa v7, v80, v9 dst_sel:DWORD dst_unused:UNUSED_PAD src0_sel:WORD_1 src1_sel:DWORD
	v_fma_f16 v5, v80, v9, v5
	v_fma_f16 v4, v80, v4, -v7
	v_pack_b32_f16 v5, v5, v4
	s_waitcnt vmcnt(19)
	v_lshrrev_b32_e32 v4, 16, v10
	s_waitcnt vmcnt(18)
	v_mul_f16_sdwa v7, v79, v4 dst_sel:DWORD dst_unused:UNUSED_PAD src0_sel:WORD_1 src1_sel:DWORD
	v_mul_f16_sdwa v8, v79, v10 dst_sel:DWORD dst_unused:UNUSED_PAD src0_sel:WORD_1 src1_sel:DWORD
	v_fma_f16 v7, v79, v10, v7
	v_fma_f16 v4, v79, v4, -v8
	v_pack_b32_f16 v7, v7, v4
	v_add_u32_e32 v4, 0x200, v69
	ds_write2_b32 v4, v5, v7 offset0:82 offset1:187
	s_waitcnt vmcnt(11)
	v_lshrrev_b32_e32 v5, 16, v11
	v_mul_f16_sdwa v7, v78, v5 dst_sel:DWORD dst_unused:UNUSED_PAD src0_sel:WORD_1 src1_sel:DWORD
	v_mul_f16_sdwa v8, v78, v11 dst_sel:DWORD dst_unused:UNUSED_PAD src0_sel:WORD_1 src1_sel:DWORD
	v_fma_f16 v7, v78, v11, v7
	v_fma_f16 v5, v78, v5, -v8
	v_pack_b32_f16 v7, v7, v5
	s_waitcnt vmcnt(10)
	v_lshrrev_b32_e32 v5, 16, v12
	v_mul_f16_sdwa v8, v77, v5 dst_sel:DWORD dst_unused:UNUSED_PAD src0_sel:WORD_1 src1_sel:DWORD
	v_mul_f16_sdwa v9, v77, v12 dst_sel:DWORD dst_unused:UNUSED_PAD src0_sel:WORD_1 src1_sel:DWORD
	v_fma_f16 v8, v77, v12, v8
	v_fma_f16 v5, v77, v5, -v9
	v_pack_b32_f16 v8, v8, v5
	v_add_u32_e32 v5, 0x600, v69
	ds_write2_b32 v5, v7, v8 offset0:36 offset1:141
	s_waitcnt vmcnt(9)
	v_lshrrev_b32_e32 v7, 16, v6
	v_mul_f16_sdwa v8, v76, v7 dst_sel:DWORD dst_unused:UNUSED_PAD src0_sel:WORD_1 src1_sel:DWORD
	v_fma_f16 v8, v76, v6, v8
	v_mul_f16_sdwa v6, v76, v6 dst_sel:DWORD dst_unused:UNUSED_PAD src0_sel:WORD_1 src1_sel:DWORD
	v_fma_f16 v6, v76, v7, -v6
	v_pack_b32_f16 v7, v8, v6
	s_waitcnt vmcnt(8)
	v_lshrrev_b32_e32 v6, 16, v13
	v_mul_f16_sdwa v8, v75, v6 dst_sel:DWORD dst_unused:UNUSED_PAD src0_sel:WORD_1 src1_sel:DWORD
	v_mul_f16_sdwa v9, v75, v13 dst_sel:DWORD dst_unused:UNUSED_PAD src0_sel:WORD_1 src1_sel:DWORD
	v_fma_f16 v8, v75, v13, v8
	v_fma_f16 v6, v75, v6, -v9
	v_pack_b32_f16 v8, v8, v6
	v_add_u32_e32 v6, 0x800, v69
	ds_write2_b32 v6, v7, v8 offset0:118 offset1:223
	s_waitcnt vmcnt(7)
	v_lshrrev_b32_e32 v7, 16, v14
	v_mul_f16_sdwa v8, v74, v7 dst_sel:DWORD dst_unused:UNUSED_PAD src0_sel:WORD_1 src1_sel:DWORD
	v_mul_f16_sdwa v9, v74, v14 dst_sel:DWORD dst_unused:UNUSED_PAD src0_sel:WORD_1 src1_sel:DWORD
	v_fma_f16 v8, v74, v14, v8
	v_fma_f16 v7, v74, v7, -v9
	v_pack_b32_f16 v8, v8, v7
	s_waitcnt vmcnt(6)
	v_lshrrev_b32_e32 v7, 16, v15
	v_mul_f16_sdwa v9, v73, v7 dst_sel:DWORD dst_unused:UNUSED_PAD src0_sel:WORD_1 src1_sel:DWORD
	v_mul_f16_sdwa v10, v73, v15 dst_sel:DWORD dst_unused:UNUSED_PAD src0_sel:WORD_1 src1_sel:DWORD
	v_fma_f16 v9, v73, v15, v9
	v_fma_f16 v7, v73, v7, -v10
	v_pack_b32_f16 v9, v9, v7
	v_add_u32_e32 v7, 0xc00, v69
	ds_write2_b32 v7, v8, v9 offset0:72 offset1:177
	s_waitcnt vmcnt(5)
	v_lshrrev_b32_e32 v8, 16, v17
	v_cmp_gt_u16_e64 s[0:1], 14, v81
	s_waitcnt vmcnt(4)
	v_mul_f16_sdwa v9, v72, v8 dst_sel:DWORD dst_unused:UNUSED_PAD src0_sel:WORD_1 src1_sel:DWORD
	v_mul_f16_sdwa v10, v72, v17 dst_sel:DWORD dst_unused:UNUSED_PAD src0_sel:WORD_1 src1_sel:DWORD
	v_fma_f16 v9, v72, v17, v9
	v_fma_f16 v8, v72, v8, -v10
	v_pack_b32_f16 v9, v9, v8
	s_waitcnt vmcnt(3)
	v_lshrrev_b32_e32 v8, 16, v18
	s_waitcnt vmcnt(2)
	v_mul_f16_sdwa v10, v71, v8 dst_sel:DWORD dst_unused:UNUSED_PAD src0_sel:WORD_1 src1_sel:DWORD
	v_mul_f16_sdwa v11, v71, v18 dst_sel:DWORD dst_unused:UNUSED_PAD src0_sel:WORD_1 src1_sel:DWORD
	v_fma_f16 v10, v71, v18, v10
	v_fma_f16 v8, v71, v8, -v11
	v_pack_b32_f16 v10, v10, v8
	v_add_u32_e32 v8, 0x1000, v69
	ds_write2_b32 v8, v9, v10 offset0:26 offset1:131
	s_waitcnt vmcnt(1)
	v_lshrrev_b32_e32 v9, 16, v19
	s_waitcnt vmcnt(0)
	v_mul_f16_sdwa v10, v70, v9 dst_sel:DWORD dst_unused:UNUSED_PAD src0_sel:WORD_1 src1_sel:DWORD
	v_mul_f16_sdwa v11, v70, v19 dst_sel:DWORD dst_unused:UNUSED_PAD src0_sel:WORD_1 src1_sel:DWORD
	v_fma_f16 v10, v70, v19, v10
	v_fma_f16 v9, v70, v9, -v11
	v_pack_b32_f16 v9, v10, v9
	ds_write_b32 v69, v9 offset:5040
	s_and_saveexec_b64 s[18:19], s[0:1]
	s_cbranch_execz .LBB0_3
; %bb.2:
	v_mov_b32_e32 v9, 0xffffedbc
	v_mad_u64_u32 v[2:3], s[20:21], s12, v9, v[2:3]
	s_mulk_i32 s13, 0xedbc
	s_sub_i32 s12, s13, s12
	v_add_u32_e32 v3, s12, v3
	global_load_dword v9, v[2:3], off
	global_load_dword v10, v[20:21], off offset:364
	v_mov_b32_e32 v11, s17
	v_add_co_u32_e32 v2, vcc, s16, v2
	v_addc_co_u32_e32 v3, vcc, v3, v11, vcc
	global_load_dword v12, v[2:3], off
	global_load_dword v13, v[20:21], off offset:784
	v_add_co_u32_e32 v2, vcc, s16, v2
	v_addc_co_u32_e32 v3, vcc, v3, v11, vcc
	global_load_dword v14, v[2:3], off
	global_load_dword v15, v[20:21], off offset:1204
	;; [unrolled: 4-line block ×10, first 2 shown]
	global_load_dword v35, v[0:1], off offset:888
	global_load_dword v36, v[0:1], off offset:1308
	v_add_co_u32_e32 v0, vcc, s16, v2
	v_addc_co_u32_e32 v1, vcc, v3, v11, vcc
	global_load_dword v2, v[0:1], off
	v_add_co_u32_e32 v0, vcc, s16, v0
	v_addc_co_u32_e32 v1, vcc, v1, v11, vcc
	global_load_dword v0, v[0:1], off
	s_waitcnt vmcnt(25)
	v_lshrrev_b32_e32 v1, 16, v9
	s_waitcnt vmcnt(24)
	v_mul_f16_sdwa v3, v10, v9 dst_sel:DWORD dst_unused:UNUSED_PAD src0_sel:WORD_1 src1_sel:DWORD
	v_mul_f16_sdwa v11, v10, v1 dst_sel:DWORD dst_unused:UNUSED_PAD src0_sel:WORD_1 src1_sel:DWORD
	v_fma_f16 v1, v10, v1, -v3
	v_fma_f16 v9, v10, v9, v11
	v_pack_b32_f16 v1, v9, v1
	s_waitcnt vmcnt(23)
	v_lshrrev_b32_e32 v3, 16, v12
	s_waitcnt vmcnt(22)
	v_mul_f16_sdwa v10, v13, v3 dst_sel:DWORD dst_unused:UNUSED_PAD src0_sel:WORD_1 src1_sel:DWORD
	v_fma_f16 v9, v13, v12, v10
	v_mul_f16_sdwa v10, v13, v12 dst_sel:DWORD dst_unused:UNUSED_PAD src0_sel:WORD_1 src1_sel:DWORD
	v_fma_f16 v3, v13, v3, -v10
	v_pack_b32_f16 v3, v9, v3
	ds_write2_b32 v69, v1, v3 offset0:91 offset1:196
	s_waitcnt vmcnt(21)
	v_lshrrev_b32_e32 v1, 16, v14
	s_waitcnt vmcnt(20)
	v_mul_f16_sdwa v3, v15, v1 dst_sel:DWORD dst_unused:UNUSED_PAD src0_sel:WORD_1 src1_sel:DWORD
	v_mul_f16_sdwa v9, v15, v14 dst_sel:DWORD dst_unused:UNUSED_PAD src0_sel:WORD_1 src1_sel:DWORD
	v_fma_f16 v3, v15, v14, v3
	v_fma_f16 v1, v15, v1, -v9
	v_pack_b32_f16 v1, v3, v1
	s_waitcnt vmcnt(19)
	v_lshrrev_b32_e32 v3, 16, v16
	s_waitcnt vmcnt(18)
	v_mul_f16_sdwa v9, v17, v3 dst_sel:DWORD dst_unused:UNUSED_PAD src0_sel:WORD_1 src1_sel:DWORD
	v_mul_f16_sdwa v10, v17, v16 dst_sel:DWORD dst_unused:UNUSED_PAD src0_sel:WORD_1 src1_sel:DWORD
	v_fma_f16 v9, v17, v16, v9
	v_fma_f16 v3, v17, v3, -v10
	v_pack_b32_f16 v3, v9, v3
	v_add_u32_e32 v9, 0x400, v69
	ds_write2_b32 v9, v1, v3 offset0:45 offset1:150
	s_waitcnt vmcnt(17)
	v_lshrrev_b32_e32 v1, 16, v18
	s_waitcnt vmcnt(16)
	v_mul_f16_sdwa v3, v19, v1 dst_sel:DWORD dst_unused:UNUSED_PAD src0_sel:WORD_1 src1_sel:DWORD
	v_mul_f16_sdwa v9, v19, v18 dst_sel:DWORD dst_unused:UNUSED_PAD src0_sel:WORD_1 src1_sel:DWORD
	v_fma_f16 v3, v19, v18, v3
	v_fma_f16 v1, v19, v1, -v9
	v_pack_b32_f16 v1, v3, v1
	s_waitcnt vmcnt(15)
	v_lshrrev_b32_e32 v3, 16, v23
	s_waitcnt vmcnt(14)
	v_mul_f16_sdwa v9, v24, v3 dst_sel:DWORD dst_unused:UNUSED_PAD src0_sel:WORD_1 src1_sel:DWORD
	v_mul_f16_sdwa v10, v24, v23 dst_sel:DWORD dst_unused:UNUSED_PAD src0_sel:WORD_1 src1_sel:DWORD
	v_fma_f16 v9, v24, v23, v9
	v_fma_f16 v3, v24, v3, -v10
	v_pack_b32_f16 v3, v9, v3
	ds_write2_b32 v5, v1, v3 offset0:127 offset1:232
	s_waitcnt vmcnt(13)
	v_lshrrev_b32_e32 v1, 16, v25
	s_waitcnt vmcnt(12)
	v_mul_f16_sdwa v3, v26, v1 dst_sel:DWORD dst_unused:UNUSED_PAD src0_sel:WORD_1 src1_sel:DWORD
	v_mul_f16_sdwa v9, v26, v25 dst_sel:DWORD dst_unused:UNUSED_PAD src0_sel:WORD_1 src1_sel:DWORD
	v_fma_f16 v3, v26, v25, v3
	v_fma_f16 v1, v26, v1, -v9
	v_pack_b32_f16 v1, v3, v1
	s_waitcnt vmcnt(11)
	v_lshrrev_b32_e32 v3, 16, v27
	s_waitcnt vmcnt(10)
	v_mul_f16_sdwa v9, v28, v3 dst_sel:DWORD dst_unused:UNUSED_PAD src0_sel:WORD_1 src1_sel:DWORD
	v_mul_f16_sdwa v10, v28, v27 dst_sel:DWORD dst_unused:UNUSED_PAD src0_sel:WORD_1 src1_sel:DWORD
	v_fma_f16 v9, v28, v27, v9
	v_fma_f16 v3, v28, v3, -v10
	v_pack_b32_f16 v3, v9, v3
	v_add_u32_e32 v9, 0xa00, v69
	ds_write2_b32 v9, v1, v3 offset0:81 offset1:186
	s_waitcnt vmcnt(9)
	v_lshrrev_b32_e32 v1, 16, v29
	s_waitcnt vmcnt(8)
	v_mul_f16_sdwa v3, v30, v1 dst_sel:DWORD dst_unused:UNUSED_PAD src0_sel:WORD_1 src1_sel:DWORD
	v_mul_f16_sdwa v9, v30, v29 dst_sel:DWORD dst_unused:UNUSED_PAD src0_sel:WORD_1 src1_sel:DWORD
	v_fma_f16 v3, v30, v29, v3
	v_fma_f16 v1, v30, v1, -v9
	v_pack_b32_f16 v1, v3, v1
	s_waitcnt vmcnt(7)
	v_lshrrev_b32_e32 v3, 16, v31
	s_waitcnt vmcnt(6)
	v_mul_f16_sdwa v9, v32, v3 dst_sel:DWORD dst_unused:UNUSED_PAD src0_sel:WORD_1 src1_sel:DWORD
	v_mul_f16_sdwa v10, v32, v31 dst_sel:DWORD dst_unused:UNUSED_PAD src0_sel:WORD_1 src1_sel:DWORD
	v_fma_f16 v9, v32, v31, v9
	v_fma_f16 v3, v32, v3, -v10
	v_pack_b32_f16 v3, v9, v3
	v_add_u32_e32 v9, 0xe00, v69
	ds_write2_b32 v9, v1, v3 offset0:35 offset1:140
	s_waitcnt vmcnt(5)
	v_lshrrev_b32_e32 v1, 16, v33
	s_waitcnt vmcnt(4)
	v_mul_f16_sdwa v3, v34, v1 dst_sel:DWORD dst_unused:UNUSED_PAD src0_sel:WORD_1 src1_sel:DWORD
	v_mul_f16_sdwa v9, v34, v33 dst_sel:DWORD dst_unused:UNUSED_PAD src0_sel:WORD_1 src1_sel:DWORD
	v_fma_f16 v3, v34, v33, v3
	v_fma_f16 v1, v34, v1, -v9
	v_pack_b32_f16 v1, v3, v1
	s_waitcnt vmcnt(1)
	v_lshrrev_b32_e32 v3, 16, v2
	v_mul_f16_sdwa v9, v35, v3 dst_sel:DWORD dst_unused:UNUSED_PAD src0_sel:WORD_1 src1_sel:DWORD
	v_fma_f16 v9, v35, v2, v9
	v_mul_f16_sdwa v2, v35, v2 dst_sel:DWORD dst_unused:UNUSED_PAD src0_sel:WORD_1 src1_sel:DWORD
	v_fma_f16 v2, v35, v3, -v2
	v_pack_b32_f16 v2, v9, v2
	ds_write2_b32 v8, v1, v2 offset0:117 offset1:222
	s_waitcnt vmcnt(0)
	v_lshrrev_b32_e32 v1, 16, v0
	v_mul_f16_sdwa v2, v36, v1 dst_sel:DWORD dst_unused:UNUSED_PAD src0_sel:WORD_1 src1_sel:DWORD
	v_fma_f16 v2, v36, v0, v2
	v_mul_f16_sdwa v0, v36, v0 dst_sel:DWORD dst_unused:UNUSED_PAD src0_sel:WORD_1 src1_sel:DWORD
	v_fma_f16 v0, v36, v1, -v0
	v_pack_b32_f16 v0, v2, v0
	ds_write_b32 v69, v0 offset:5404
.LBB0_3:
	s_or_b64 exec, exec, s[18:19]
	s_waitcnt lgkmcnt(0)
	s_barrier
	ds_read2_b32 v[16:17], v69 offset1:105
	ds_read2_b32 v[27:28], v4 offset0:82 offset1:187
	ds_read2_b32 v[33:34], v5 offset0:36 offset1:141
	;; [unrolled: 1-line block ×5, first 2 shown]
	ds_read_b32 v50, v69 offset:5040
	v_mov_b32_e32 v0, 0
                                        ; implicit-def: $vgpr3
                                        ; implicit-def: $vgpr8
                                        ; implicit-def: $vgpr5
                                        ; implicit-def: $vgpr10
                                        ; implicit-def: $vgpr7
                                        ; implicit-def: $vgpr35
	s_and_saveexec_b64 s[12:13], s[0:1]
	s_cbranch_execz .LBB0_5
; %bb.4:
	v_add_u32_e32 v2, 0x400, v69
	ds_read2_b32 v[6:7], v2 offset0:45 offset1:150
	v_add_u32_e32 v2, 0x600, v69
	ds_read2_b32 v[4:5], v2 offset0:127 offset1:232
	v_add_u32_e32 v2, 0xa00, v69
	v_add_u32_e32 v8, 0xe00, v69
	v_add_u32_e32 v10, 0x1000, v69
	ds_read2_b32 v[0:1], v69 offset0:91 offset1:196
	ds_read2_b32 v[2:3], v2 offset0:81 offset1:186
	;; [unrolled: 1-line block ×4, first 2 shown]
	ds_read_b32 v35, v69 offset:5404
.LBB0_5:
	s_or_b64 exec, exec, s[12:13]
	s_waitcnt lgkmcnt(0)
	v_pk_add_f16 v38, v1, v35 neg_lo:[0,1] neg_hi:[0,1]
	s_mov_b32 s24, 0xba95
	v_pk_add_f16 v36, v35, v1
	s_mov_b32 s28, 0xb770
	v_mul_f16_sdwa v13, v38, s24 dst_sel:DWORD dst_unused:UNUSED_PAD src0_sel:WORD_1 src1_sel:DWORD
	s_movk_i32 s12, 0x388b
	s_mov_b32 s26, 0xbbf1
	v_mul_f16_sdwa v40, v38, s28 dst_sel:DWORD dst_unused:UNUSED_PAD src0_sel:WORD_1 src1_sel:DWORD
	s_movk_i32 s13, 0x3b15
	v_fma_f16 v14, v36, s12, -v13
	v_fma_f16 v15, v36, s12, v13
	v_mul_f16_sdwa v13, v38, s26 dst_sel:DWORD dst_unused:UNUSED_PAD src0_sel:WORD_1 src1_sel:DWORD
	s_movk_i32 s14, 0x2fb7
	s_mov_b32 s16, 0xbb7b
	v_pk_add_f16 v42, v6, v11 neg_lo:[0,1] neg_hi:[0,1]
	v_fma_f16 v12, v36, s13, -v40
	v_fma_f16 v25, v36, s14, -v13
	v_fma_f16 v23, v36, s14, v13
	v_mul_f16_sdwa v13, v38, s16 dst_sel:DWORD dst_unused:UNUSED_PAD src0_sel:WORD_1 src1_sel:DWORD
	s_mov_b32 s17, 0xb5ac
	v_pk_add_f16 v37, v11, v6
	v_mul_f16_sdwa v44, v42, s24 dst_sel:DWORD dst_unused:UNUSED_PAD src0_sel:WORD_1 src1_sel:DWORD
	v_fma_f16 v26, v36, s17, -v13
	v_fma_f16 v55, v36, s17, v13
	v_fma_f16 v13, v37, s12, -v44
	v_mul_f16_sdwa v24, v42, s16 dst_sel:DWORD dst_unused:UNUSED_PAD src0_sel:WORD_1 src1_sel:DWORD
	s_mov_b32 s23, 0xb3a8
	v_pk_add_f16 v43, v7, v10 neg_lo:[0,1] neg_hi:[0,1]
	v_add_f16_e32 v12, v12, v0
	v_fma_f16 v52, v37, s17, -v24
	s_mov_b32 s21, 0xbbc4
	s_movk_i32 s27, 0x394e
	v_pk_add_f16 v39, v10, v7
	v_mul_f16_sdwa v46, v43, s26 dst_sel:DWORD dst_unused:UNUSED_PAD src0_sel:WORD_1 src1_sel:DWORD
	v_mul_f16_sdwa v56, v43, s23 dst_sel:DWORD dst_unused:UNUSED_PAD src0_sel:WORD_1 src1_sel:DWORD
	v_pk_add_f16 v47, v4, v9 neg_lo:[0,1] neg_hi:[0,1]
	v_add_f16_e32 v12, v13, v12
	v_add_f16_e32 v13, v14, v0
	s_mov_b32 s19, 0xb9fd
	s_movk_i32 s20, 0x3bf1
	v_fma_f16 v53, v39, s14, -v46
	v_fma_f16 v54, v39, s21, -v56
	v_pk_add_f16 v41, v9, v4
	v_mul_f16_sdwa v58, v47, s27 dst_sel:DWORD dst_unused:UNUSED_PAD src0_sel:WORD_1 src1_sel:DWORD
	v_pk_add_f16 v49, v5, v8 neg_lo:[0,1] neg_hi:[0,1]
	v_add_f16_e32 v13, v52, v13
	s_mov_b32 s18, 0xb94e
	s_movk_i32 s22, 0x3770
	v_mul_f16_sdwa v48, v47, s16 dst_sel:DWORD dst_unused:UNUSED_PAD src0_sel:WORD_1 src1_sel:DWORD
	v_fma_f16 v59, v41, s19, -v58
	v_pk_add_f16 v45, v8, v5
	v_mul_f16_sdwa v61, v49, s20 dst_sel:DWORD dst_unused:UNUSED_PAD src0_sel:WORD_1 src1_sel:DWORD
	v_add_f16_e32 v12, v53, v12
	v_add_f16_e32 v13, v54, v13
	v_pk_add_f16 v53, v2, v3 neg_lo:[0,1] neg_hi:[0,1]
	v_fma_f16 v57, v41, s17, -v48
	v_mul_f16_sdwa v51, v49, s18 dst_sel:DWORD dst_unused:UNUSED_PAD src0_sel:WORD_1 src1_sel:DWORD
	v_fma_f16 v14, v45, s14, -v61
	v_pk_add_f16 v52, v3, v2
	v_add_f16_e32 v13, v59, v13
	v_mul_f16_sdwa v59, v53, s22 dst_sel:DWORD dst_unused:UNUSED_PAD src0_sel:WORD_1 src1_sel:DWORD
	v_fma_f16 v60, v45, s19, -v51
	v_add_f16_e32 v12, v57, v12
	v_mul_f16_sdwa v54, v53, s23 dst_sel:DWORD dst_unused:UNUSED_PAD src0_sel:WORD_1 src1_sel:DWORD
	v_add_f16_e32 v13, v14, v13
	v_fma_f16 v14, v52, s13, -v59
	v_fma_f16 v24, v37, s17, v24
	v_fma_f16 v57, v52, s21, -v54
	v_add_f16_e32 v12, v60, v12
	v_add_f16_e32 v13, v14, v13
	v_mul_f16_sdwa v14, v42, s23 dst_sel:DWORD dst_unused:UNUSED_PAD src0_sel:WORD_1 src1_sel:DWORD
	s_movk_i32 s30, 0x3b7b
	v_add_f16_e32 v15, v15, v0
	v_add_f16_e32 v12, v57, v12
	v_fma_f16 v57, v37, s21, -v14
	v_fma_f16 v14, v37, s21, v14
	v_fma_f16 v56, v39, s21, v56
	v_add_f16_e32 v15, v24, v15
	v_mul_f16_sdwa v60, v43, s30 dst_sel:DWORD dst_unused:UNUSED_PAD src0_sel:WORD_1 src1_sel:DWORD
	v_add_f16_e32 v23, v23, v0
	v_add_f16_e32 v14, v14, v23
	v_fma_f16 v23, v39, s17, v60
	v_fma_f16 v24, v41, s19, v58
	v_add_f16_e32 v15, v56, v15
	v_mul_f16_sdwa v56, v47, s22 dst_sel:DWORD dst_unused:UNUSED_PAD src0_sel:WORD_1 src1_sel:DWORD
	v_add_f16_e32 v14, v23, v14
	v_fma_f16 v23, v41, s13, v56
	v_fma_f16 v58, v45, s14, v61
	v_add_f16_e32 v15, v24, v15
	v_mul_f16_sdwa v61, v49, s24 dst_sel:DWORD dst_unused:UNUSED_PAD src0_sel:WORD_1 src1_sel:DWORD
	v_add_f16_e32 v14, v23, v14
	v_fma_f16 v23, v45, s12, v61
	v_add_f16_e32 v15, v58, v15
	v_mul_f16_sdwa v58, v53, s18 dst_sel:DWORD dst_unused:UNUSED_PAD src0_sel:WORD_1 src1_sel:DWORD
	v_fma_f16 v24, v52, s13, v59
	v_add_f16_e32 v14, v23, v14
	v_fma_f16 v23, v52, s19, v58
	v_mul_f16_sdwa v62, v42, s27 dst_sel:DWORD dst_unused:UNUSED_PAD src0_sel:WORD_1 src1_sel:DWORD
	v_add_f16_e32 v25, v25, v0
	v_add_f16_e32 v24, v24, v15
	;; [unrolled: 1-line block ×3, first 2 shown]
	v_fma_f16 v14, v37, s19, -v62
	v_fma_f16 v15, v39, s17, -v60
	v_add_f16_e32 v25, v57, v25
	v_mul_f16_sdwa v57, v43, s22 dst_sel:DWORD dst_unused:UNUSED_PAD src0_sel:WORD_1 src1_sel:DWORD
	v_add_f16_e32 v26, v26, v0
	v_add_f16_e32 v14, v14, v26
	v_fma_f16 v26, v39, s13, -v57
	v_fma_f16 v56, v41, s13, -v56
	v_add_f16_e32 v15, v15, v25
	v_mul_f16_sdwa v25, v47, s26 dst_sel:DWORD dst_unused:UNUSED_PAD src0_sel:WORD_1 src1_sel:DWORD
	s_movk_i32 s29, 0x33a8
	v_add_f16_e32 v14, v26, v14
	v_fma_f16 v26, v41, s14, -v25
	v_add_f16_e32 v15, v56, v15
	v_mul_f16_sdwa v56, v49, s29 dst_sel:DWORD dst_unused:UNUSED_PAD src0_sel:WORD_1 src1_sel:DWORD
	s_movk_i32 s25, 0x3a95
	v_fma_f16 v59, v45, s12, -v61
	v_add_f16_e32 v14, v26, v14
	v_fma_f16 v26, v45, s21, -v56
	v_mul_f16_sdwa v61, v53, s25 dst_sel:DWORD dst_unused:UNUSED_PAD src0_sel:WORD_1 src1_sel:DWORD
	v_fma_f16 v58, v52, s19, -v58
	v_add_f16_e32 v15, v59, v15
	v_add_f16_e32 v26, v26, v14
	v_fma_f16 v59, v52, s12, -v61
	v_add_f16_e32 v14, v58, v15
	v_add_f16_e32 v15, v59, v26
	v_mul_f16_sdwa v59, v38, s18 dst_sel:DWORD dst_unused:UNUSED_PAD src0_sel:WORD_1 src1_sel:DWORD
	v_fma_f16 v26, v36, s19, v59
	v_fma_f16 v58, v37, s19, v62
	v_add_f16_e32 v55, v55, v0
	v_mul_f16_sdwa v60, v42, s20 dst_sel:DWORD dst_unused:UNUSED_PAD src0_sel:WORD_1 src1_sel:DWORD
	v_add_f16_e32 v55, v58, v55
	v_add_f16_e32 v26, v26, v0
	v_fma_f16 v58, v37, s14, v60
	v_add_f16_e32 v26, v58, v26
	v_fma_f16 v57, v39, s13, v57
	v_mul_f16_sdwa v58, v43, s24 dst_sel:DWORD dst_unused:UNUSED_PAD src0_sel:WORD_1 src1_sel:DWORD
	v_add_f16_e32 v55, v57, v55
	v_fma_f16 v57, v39, s12, v58
	v_add_f16_e32 v26, v57, v26
	v_fma_f16 v25, v41, s14, v25
	v_mul_f16_sdwa v57, v47, s29 dst_sel:DWORD dst_unused:UNUSED_PAD src0_sel:WORD_1 src1_sel:DWORD
	;; [unrolled: 5-line block ×3, first 2 shown]
	v_add_f16_e32 v25, v55, v25
	v_fma_f16 v55, v45, s13, v56
	v_add_f16_e32 v62, v55, v26
	v_fma_f16 v26, v52, s12, v61
	v_pk_add_f16 v61, v16, v17
	v_pk_add_f16 v61, v61, v27
	;; [unrolled: 1-line block ×5, first 2 shown]
	v_mul_f16_sdwa v55, v53, s16 dst_sel:DWORD dst_unused:UNUSED_PAD src0_sel:WORD_1 src1_sel:DWORD
	v_pk_add_f16 v63, v63, v18
	v_add_f16_e32 v26, v26, v25
	v_fma_f16 v25, v52, s17, v55
	v_pk_add_f16 v63, v63, v19
	v_add_f16_e32 v25, v25, v62
	v_pk_add_f16 v62, v31, v34
	v_pk_add_f16 v34, v34, v31 neg_lo:[0,1] neg_hi:[0,1]
	v_pk_add_f16 v31, v63, v31
	v_pk_add_f16 v88, v17, v50 neg_lo:[0,1] neg_hi:[0,1]
	;; [unrolled: 2-line block ×4, first 2 shown]
	v_pk_add_f16 v87, v50, v17
	v_mul_f16_sdwa v89, v88, s28 dst_sel:DWORD dst_unused:UNUSED_PAD src0_sel:WORD_1 src1_sel:DWORD
	v_pk_add_f16 v63, v30, v27
	v_pk_add_f16 v31, v29, v28
	v_pk_add_f16 v27, v28, v29 neg_lo:[0,1] neg_hi:[0,1]
	v_pk_add_f16 v28, v64, v29
	v_fma_f16 v17, v87, s13, -v89
	v_mul_f16_sdwa v67, v32, s24 dst_sel:DWORD dst_unused:UNUSED_PAD src0_sel:WORD_1 src1_sel:DWORD
	v_pk_add_f16 v85, v28, v30
	v_add_f16_e32 v17, v16, v17
	v_fma_f16 v28, v63, s12, -v67
	s_mov_b32 s28, 0x3b15388b
	v_add_f16_e32 v17, v28, v17
	s_mov_b32 s31, 0xba95b770
	v_pk_mul_f16 v28, v87, s28
	v_pk_fma_f16 v90, v88, s31, v28 op_sel:[0,0,1] op_sel_hi:[1,1,0] neg_lo:[1,0,0] neg_hi:[1,0,0]
	v_pk_fma_f16 v91, v88, s31, v28 op_sel:[0,0,1] op_sel_hi:[1,1,0]
	s_mov_b32 s28, 0xffff
	s_mov_b32 s31, 0x388bb5ac
	v_bfi_b32 v28, s28, v91, v90
	s_mov_b32 s33, 0xbb7bba95
	v_pk_mul_f16 v30, v63, s31
	v_pk_add_f16 v29, v16, v28 op_sel:[1,0] op_sel_hi:[0,1]
	v_pk_fma_f16 v28, v32, s33, v30 op_sel:[0,0,1] op_sel_hi:[1,1,0] neg_lo:[1,0,0] neg_hi:[1,0,0]
	v_pk_fma_f16 v94, v32, s33, v30 op_sel:[0,0,1] op_sel_hi:[1,1,0]
	v_bfi_b32 v30, s28, v94, v28
	v_lshrrev_b32_e32 v92, 16, v87
	v_mul_f16_e32 v93, 0xba95, v88
	v_pk_add_f16 v30, v30, v29
	v_fma_f16 v29, v92, s12, v93
	v_lshrrev_b32_e32 v95, 16, v63
	v_mul_f16_e32 v96, 0xbb7b, v32
	v_add_f16_sdwa v29, v16, v29 dst_sel:DWORD dst_unused:UNUSED_PAD src0_sel:WORD_1 src1_sel:DWORD
	v_fma_f16 v64, v95, s17, v96
	v_mul_f16_sdwa v97, v27, s26 dst_sel:DWORD dst_unused:UNUSED_PAD src0_sel:WORD_1 src1_sel:DWORD
	s_mov_b32 s31, 0x2fb7bbc4
	v_add_f16_e32 v64, v64, v29
	v_fma_f16 v29, v31, s14, -v97
	s_mov_b32 s33, 0xb3a8bbf1
	v_pk_mul_f16 v65, v31, s31
	v_add_f16_e32 v17, v29, v17
	v_pk_fma_f16 v29, v27, s33, v65 op_sel:[0,0,1] op_sel_hi:[1,1,0] neg_lo:[1,0,0] neg_hi:[1,0,0]
	v_pk_fma_f16 v98, v27, s33, v65 op_sel:[0,0,1] op_sel_hi:[1,1,0]
	v_bfi_b32 v65, s28, v98, v29
	v_lshrrev_b32_e32 v99, 16, v31
	v_mul_f16_e32 v100, 0xb3a8, v27
	v_pk_add_f16 v65, v65, v30
	v_fma_f16 v30, v99, s21, v100
	v_mul_f16_sdwa v101, v33, s16 dst_sel:DWORD dst_unused:UNUSED_PAD src0_sel:WORD_1 src1_sel:DWORD
	s_mov_b32 s31, 0xb5acb9fd
	v_add_f16_e32 v64, v30, v64
	v_fma_f16 v30, v61, s17, -v101
	s_mov_b32 s33, 0x394ebb7b
	v_pk_mul_f16 v66, v61, s31
	v_add_f16_e32 v17, v30, v17
	v_pk_fma_f16 v30, v33, s33, v66 op_sel:[0,0,1] op_sel_hi:[1,1,0] neg_lo:[1,0,0] neg_hi:[1,0,0]
	v_pk_fma_f16 v102, v33, s33, v66 op_sel:[0,0,1] op_sel_hi:[1,1,0]
	v_bfi_b32 v66, s28, v102, v30
	v_lshrrev_b32_e32 v68, 16, v61
	v_mul_f16_e32 v103, 0x394e, v33
	v_pk_add_f16 v66, v66, v65
	v_fma_f16 v65, v68, s19, v103
	v_mul_f16_sdwa v104, v34, s18 dst_sel:DWORD dst_unused:UNUSED_PAD src0_sel:WORD_1 src1_sel:DWORD
	v_add_f16_e32 v64, v65, v64
	v_fma_f16 v65, v62, s19, -v104
	s_mov_b32 s31, 0xb9fd2fb7
	v_add_f16_e32 v86, v65, v17
	s_mov_b32 s33, 0x3bf1b94e
	v_pk_mul_f16 v17, v62, s31
	v_pk_fma_f16 v65, v34, s33, v17 op_sel:[0,0,1] op_sel_hi:[1,1,0] neg_lo:[1,0,0] neg_hi:[1,0,0]
	v_pk_fma_f16 v17, v34, s33, v17 op_sel:[0,0,1] op_sel_hi:[1,1,0]
	v_bfi_b32 v105, s28, v17, v65
	v_lshrrev_b32_e32 v106, 16, v62
	v_mul_f16_e32 v107, 0x3bf1, v34
	v_pk_add_f16 v105, v105, v66
	v_fma_f16 v66, v106, s14, v107
	v_add_f16_e32 v108, v66, v64
	v_pk_add_f16 v66, v19, v18
	v_pk_add_f16 v19, v18, v19 neg_lo:[0,1] neg_hi:[0,1]
	v_mul_f16_sdwa v18, v19, s23 dst_sel:DWORD dst_unused:UNUSED_PAD src0_sel:WORD_1 src1_sel:DWORD
	v_fma_f16 v64, v66, s21, -v18
	s_mov_b32 s33, 0xbbc43b15
	v_add_f16_e32 v86, v64, v86
	s_mov_b32 s31, 0x3770b3a8
	v_pk_mul_f16 v64, v66, s33
	v_pk_fma_f16 v109, v19, s31, v64 op_sel:[0,0,1] op_sel_hi:[1,1,0] neg_lo:[1,0,0] neg_hi:[1,0,0]
	v_pk_fma_f16 v110, v19, s31, v64 op_sel:[0,0,1] op_sel_hi:[1,1,0]
	v_bfi_b32 v110, s28, v110, v109
	v_pk_add_f16 v105, v110, v105
	v_lshrrev_b32_e32 v110, 16, v66
	v_mul_f16_e32 v111, 0x3770, v19
	v_fma_f16 v112, v110, s13, v111
	v_add_f16_e32 v108, v112, v108
	v_alignbit_b32 v108, v108, v105, 16
	v_pack_b32_f16 v105, v86, v105
	v_mul_lo_u16_e32 v86, 13, v81
	v_lshl_add_u32 v86, v86, 2, v84
	s_barrier
	ds_write2_b32 v86, v105, v108 offset0:1 offset1:2
	v_mul_f16_sdwa v105, v88, s26 dst_sel:DWORD dst_unused:UNUSED_PAD src0_sel:WORD_1 src1_sel:DWORD
	v_fma_f16 v108, v87, s14, -v105
	v_mul_f16_sdwa v112, v32, s23 dst_sel:DWORD dst_unused:UNUSED_PAD src0_sel:WORD_1 src1_sel:DWORD
	v_add_f16_e32 v108, v16, v108
	v_fma_f16 v113, v63, s21, -v112
	v_add_f16_e32 v108, v113, v108
	v_mul_f16_e32 v113, 0xbbf1, v88
	v_fma_f16 v114, v92, s14, v113
	v_mul_f16_e32 v115, 0xb3a8, v32
	v_add_f16_sdwa v114, v16, v114 dst_sel:DWORD dst_unused:UNUSED_PAD src0_sel:WORD_1 src1_sel:DWORD
	v_fma_f16 v116, v95, s21, v115
	v_add_f16_e32 v114, v116, v114
	v_mul_f16_sdwa v116, v88, s16 dst_sel:DWORD dst_unused:UNUSED_PAD src0_sel:WORD_1 src1_sel:DWORD
	v_fma_f16 v117, v87, s17, -v116
	v_mul_f16_sdwa v118, v32, s27 dst_sel:DWORD dst_unused:UNUSED_PAD src0_sel:WORD_1 src1_sel:DWORD
	v_add_f16_e32 v117, v16, v117
	v_fma_f16 v119, v63, s19, -v118
	v_add_f16_e32 v117, v119, v117
	v_mul_f16_e32 v119, 0xbb7b, v88
	v_fma_f16 v120, v92, s17, v119
	v_mul_f16_e32 v121, 0x394e, v32
	v_add_f16_sdwa v120, v16, v120 dst_sel:DWORD dst_unused:UNUSED_PAD src0_sel:WORD_1 src1_sel:DWORD
	v_fma_f16 v122, v95, s19, v121
	v_add_f16_e32 v120, v122, v120
	v_mul_f16_sdwa v122, v27, s30 dst_sel:DWORD dst_unused:UNUSED_PAD src0_sel:WORD_1 src1_sel:DWORD
	v_fma_f16 v123, v31, s17, -v122
	v_add_f16_e32 v108, v123, v108
	v_mul_f16_e32 v123, 0x3b7b, v27
	v_fma_f16 v124, v99, s17, v123
	v_add_f16_e32 v114, v124, v114
	v_mul_f16_sdwa v124, v27, s22 dst_sel:DWORD dst_unused:UNUSED_PAD src0_sel:WORD_1 src1_sel:DWORD
	v_fma_f16 v125, v31, s13, -v124
	v_add_f16_e32 v117, v125, v117
	v_mul_f16_e32 v125, 0x3770, v27
	;; [unrolled: 6-line block ×8, first 2 shown]
	v_fma_f16 v138, v110, s12, v137
	v_add_f16_e32 v120, v138, v120
	v_pack_b32_f16 v117, v117, v120
	v_pack_b32_f16 v108, v108, v114
	v_pk_add_f16 v50, v85, v50
	v_mul_f16_sdwa v85, v88, s18 dst_sel:DWORD dst_unused:UNUSED_PAD src0_sel:WORD_1 src1_sel:DWORD
	ds_write2_b32 v86, v108, v117 offset0:3 offset1:4
	v_fma_f16 v108, v87, s19, -v85
	v_mul_f16_sdwa v114, v32, s20 dst_sel:DWORD dst_unused:UNUSED_PAD src0_sel:WORD_1 src1_sel:DWORD
	v_add_f16_e32 v108, v16, v108
	v_fma_f16 v117, v63, s14, -v114
	v_add_f16_e32 v108, v117, v108
	v_mul_f16_e32 v117, 0xb94e, v88
	v_fma_f16 v120, v92, s19, v117
	v_mul_f16_e32 v138, 0x3bf1, v32
	v_add_f16_sdwa v120, v16, v120 dst_sel:DWORD dst_unused:UNUSED_PAD src0_sel:WORD_1 src1_sel:DWORD
	v_fma_f16 v139, v95, s14, v138
	v_add_f16_e32 v120, v139, v120
	v_mul_f16_sdwa v139, v27, s24 dst_sel:DWORD dst_unused:UNUSED_PAD src0_sel:WORD_1 src1_sel:DWORD
	v_fma_f16 v140, v31, s12, -v139
	v_add_f16_e32 v108, v140, v108
	v_mul_f16_e32 v140, 0xba95, v27
	v_fma_f16 v141, v99, s12, v140
	v_add_f16_e32 v120, v141, v120
	v_mul_f16_sdwa v141, v33, s29 dst_sel:DWORD dst_unused:UNUSED_PAD src0_sel:WORD_1 src1_sel:DWORD
	v_fma_f16 v142, v61, s21, -v141
	v_add_f16_e32 v108, v142, v108
	v_mul_f16_e32 v142, 0x33a8, v33
	;; [unrolled: 6-line block ×4, first 2 shown]
	v_fma_f16 v147, v110, s17, v146
	v_add_f16_e32 v120, v147, v120
	v_pack_b32_f16 v108, v108, v120
	ds_write2_b32 v86, v50, v108 offset1:5
	v_fma_f16 v50, v92, s12, -v93
	v_fma_f16 v93, v92, s14, -v113
	v_fma_f16 v89, v87, s13, v89
	v_fma_f16 v105, v87, s14, v105
	;; [unrolled: 1-line block ×4, first 2 shown]
	v_pk_mul_f16 v87, v87, s21 op_sel_hi:[1,0]
	v_fma_f16 v108, v92, s17, -v119
	v_fma_f16 v92, v92, s19, -v117
	v_pk_fma_f16 v116, v88, s23, v87 op_sel:[0,0,1] op_sel_hi:[1,0,0] neg_lo:[1,0,0] neg_hi:[1,0,0]
	v_pk_fma_f16 v87, v88, s23, v87 op_sel:[0,0,1] op_sel_hi:[1,0,0]
	v_add_f16_e32 v117, v16, v89
	v_pk_add_f16 v119, v16, v91 op_sel:[1,0] op_sel_hi:[0,1]
	v_add_f16_sdwa v50, v16, v50 dst_sel:DWORD dst_unused:UNUSED_PAD src0_sel:WORD_1 src1_sel:DWORD
	v_add_f16_e32 v105, v16, v105
	v_add_f16_sdwa v120, v16, v93 dst_sel:DWORD dst_unused:UNUSED_PAD src0_sel:WORD_1 src1_sel:DWORD
	v_add_f16_e32 v113, v16, v113
	;; [unrolled: 2-line block ×3, first 2 shown]
	v_add_f16_sdwa v147, v16, v92 dst_sel:DWORD dst_unused:UNUSED_PAD src0_sel:WORD_1 src1_sel:DWORD
	v_add_f16_sdwa v148, v16, v90 dst_sel:DWORD dst_unused:UNUSED_PAD src0_sel:WORD_1 src1_sel:DWORD
	v_pk_add_f16 v116, v16, v116 op_sel:[1,0] op_sel_hi:[0,1]
	v_pk_add_f16 v16, v16, v87 op_sel:[1,0] op_sel_hi:[0,1]
	v_lshrrev_b32_e32 v87, 16, v36
	v_mul_f16_e32 v88, 0xb770, v38
	v_mul_f16_e32 v90, 0xba95, v38
	;; [unrolled: 1-line block ×5, first 2 shown]
	v_fma_f16 v40, v36, s13, v40
	v_fma_f16 v59, v36, s19, -v59
	v_fma_f16 v89, v87, s13, v88
	v_fma_f16 v88, v87, s13, -v88
	v_fma_f16 v91, v87, s12, v90
	v_fma_f16 v90, v87, s12, -v90
	v_fma_f16 v93, v87, s14, v92
	v_fma_f16 v92, v87, s14, -v92
	v_fma_f16 v150, v87, s17, v149
	v_fma_f16 v149, v87, s17, -v149
	v_fma_f16 v152, v87, s19, v151
	v_fma_f16 v87, v87, s19, -v151
	v_lshrrev_b32_e32 v151, 16, v37
	v_mul_f16_e32 v153, 0xba95, v42
	v_mul_f16_e32 v155, 0xbb7b, v42
	;; [unrolled: 1-line block ×5, first 2 shown]
	v_fma_f16 v44, v37, s12, v44
	v_add_f16_e32 v40, v40, v0
	v_fma_f16 v60, v37, s14, -v60
	v_add_f16_e32 v59, v59, v0
	v_fma_f16 v154, v151, s12, v153
	v_fma_f16 v153, v151, s12, -v153
	v_fma_f16 v156, v151, s17, v155
	v_fma_f16 v155, v151, s17, -v155
	;; [unrolled: 2-line block ×5, first 2 shown]
	v_lshrrev_b32_e32 v161, 16, v39
	v_mul_f16_e32 v163, 0xbbf1, v43
	v_mul_f16_e32 v165, 0xb3a8, v43
	;; [unrolled: 1-line block ×5, first 2 shown]
	v_add_f16_e32 v40, v44, v40
	v_add_f16_sdwa v44, v88, v0 dst_sel:DWORD dst_unused:UNUSED_PAD src0_sel:DWORD src1_sel:WORD_1
	v_add_f16_sdwa v88, v91, v0 dst_sel:DWORD dst_unused:UNUSED_PAD src0_sel:DWORD src1_sel:WORD_1
	v_add_f16_e32 v59, v60, v59
	v_add_f16_sdwa v60, v152, v0 dst_sel:DWORD dst_unused:UNUSED_PAD src0_sel:DWORD src1_sel:WORD_1
	v_add_f16_sdwa v87, v87, v0 dst_sel:DWORD dst_unused:UNUSED_PAD src0_sel:DWORD src1_sel:WORD_1
	v_pk_mul_f16 v38, v38, s23 op_sel_hi:[1,0]
	v_fma_f16 v164, v161, s14, v163
	v_fma_f16 v163, v161, s14, -v163
	v_fma_f16 v166, v161, s21, v165
	v_fma_f16 v165, v161, s21, -v165
	;; [unrolled: 2-line block ×5, first 2 shown]
	v_lshrrev_b32_e32 v171, 16, v41
	v_mul_f16_e32 v173, 0xbb7b, v47
	v_mul_f16_e32 v175, 0x394e, v47
	;; [unrolled: 1-line block ×5, first 2 shown]
	v_add_f16_e32 v88, v156, v88
	v_add_f16_sdwa v91, v93, v0 dst_sel:DWORD dst_unused:UNUSED_PAD src0_sel:DWORD src1_sel:WORD_1
	v_add_f16_sdwa v93, v150, v0 dst_sel:DWORD dst_unused:UNUSED_PAD src0_sel:DWORD src1_sel:WORD_1
	v_add_f16_e32 v60, v162, v60
	v_add_f16_e32 v87, v151, v87
	v_pk_fma_f16 v150, v36, s21, v38 op_sel:[0,0,1] op_sel_hi:[1,0,0] neg_lo:[0,0,1] neg_hi:[0,0,1]
	v_pk_mul_f16 v42, v42, s22 op_sel_hi:[1,0]
	v_fma_f16 v46, v39, s14, v46
	v_fma_f16 v58, v39, s12, -v58
	v_pk_fma_f16 v36, v36, s21, v38 op_sel:[0,0,1] op_sel_hi:[1,0,0]
	v_fma_f16 v174, v171, s17, v173
	v_fma_f16 v173, v171, s17, -v173
	v_fma_f16 v176, v171, s19, v175
	v_fma_f16 v175, v171, s19, -v175
	;; [unrolled: 2-line block ×5, first 2 shown]
	v_lshrrev_b32_e32 v181, 16, v45
	v_mul_f16_e32 v185, 0x3bf1, v49
	v_pk_add_f16 v150, v150, v0
	v_pk_fma_f16 v151, v37, s13, v42 op_sel:[0,0,1] op_sel_hi:[1,0,0] neg_lo:[0,0,1] neg_hi:[0,0,1]
	v_add_f16_e32 v40, v46, v40
	v_add_f16_e32 v46, v166, v88
	;; [unrolled: 1-line block ×5, first 2 shown]
	v_pk_mul_f16 v43, v43, s18 op_sel_hi:[1,0]
	v_fma_f16 v48, v41, s17, v48
	v_fma_f16 v57, v41, s21, -v57
	v_pk_fma_f16 v37, v37, s13, v42 op_sel:[0,0,1] op_sel_hi:[1,0,0]
	v_pk_add_f16 v36, v36, v0
	v_fma_f16 v186, v181, s14, v185
	v_pk_add_f16 v150, v151, v150
	v_pk_fma_f16 v87, v39, s19, v43 op_sel:[0,0,1] op_sel_hi:[1,0,0] neg_lo:[0,0,1] neg_hi:[0,0,1]
	v_add_f16_e32 v40, v48, v40
	v_add_f16_e32 v46, v176, v46
	;; [unrolled: 1-line block ×5, first 2 shown]
	v_pk_mul_f16 v60, v47, s25 op_sel_hi:[1,0]
	v_fma_f16 v51, v45, s19, v51
	v_pk_add_f16 v36, v37, v36
	v_pk_fma_f16 v37, v39, s19, v43 op_sel:[0,0,1] op_sel_hi:[1,0,0]
	v_mul_f16_e32 v183, 0xb94e, v49
	v_mul_f16_e32 v187, 0xba95, v49
	;; [unrolled: 1-line block ×4, first 2 shown]
	v_pk_add_f16 v87, v87, v150
	v_pk_fma_f16 v47, v41, s12, v60 op_sel:[0,0,1] op_sel_hi:[1,0,0] neg_lo:[0,0,1] neg_hi:[0,0,1]
	v_add_f16_e32 v40, v51, v40
	v_add_f16_e32 v51, v186, v46
	v_fma_f16 v46, v45, s13, -v56
	v_pk_mul_f16 v49, v49, s16 op_sel_hi:[1,0]
	v_pk_add_f16 v36, v37, v36
	v_pk_fma_f16 v37, v41, s12, v60 op_sel:[0,0,1] op_sel_hi:[1,0,0]
	v_fma_f16 v184, v181, s19, v183
	v_fma_f16 v183, v181, s19, -v183
	v_fma_f16 v185, v181, s14, -v185
	v_fma_f16 v188, v181, s12, v187
	v_fma_f16 v187, v181, s12, -v187
	v_fma_f16 v190, v181, s21, v189
	;; [unrolled: 2-line block ×3, first 2 shown]
	v_fma_f16 v181, v181, s13, -v191
	v_add_f16_sdwa v90, v90, v0 dst_sel:DWORD dst_unused:UNUSED_PAD src0_sel:DWORD src1_sel:WORD_1
	v_add_f16_sdwa v92, v92, v0 dst_sel:DWORD dst_unused:UNUSED_PAD src0_sel:DWORD src1_sel:WORD_1
	v_add_f16_sdwa v149, v149, v0 dst_sel:DWORD dst_unused:UNUSED_PAD src0_sel:DWORD src1_sel:WORD_1
	v_pk_add_f16 v47, v47, v87
	v_add_f16_e32 v56, v46, v57
	v_pk_fma_f16 v46, v45, s17, v49 op_sel:[0,0,1] op_sel_hi:[1,0,0] neg_lo:[0,0,1] neg_hi:[0,0,1]
	v_pk_add_f16 v36, v37, v36
	v_pk_fma_f16 v37, v45, s17, v49 op_sel:[0,0,1] op_sel_hi:[1,0,0]
	v_pk_mul_f16 v38, v53, s20 op_sel_hi:[1,0]
	v_add_f16_e32 v90, v155, v90
	v_add_f16_e32 v91, v158, v91
	;; [unrolled: 1-line block ×7, first 2 shown]
	v_pk_add_f16 v59, v46, v47
	v_pk_add_f16 v36, v37, v36
	v_pk_fma_f16 v39, v52, s14, v38 op_sel:[0,0,1] op_sel_hi:[1,0,0] neg_lo:[0,0,1] neg_hi:[0,0,1]
	v_pk_fma_f16 v38, v52, s14, v38 op_sel:[0,0,1] op_sel_hi:[1,0,0]
	v_lshrrev_b32_e32 v191, 16, v52
	v_add_f16_e32 v88, v165, v90
	v_add_f16_e32 v90, v168, v91
	;; [unrolled: 1-line block ×5, first 2 shown]
	v_fma_f16 v47, v52, s21, v54
	v_fma_f16 v37, v52, s17, -v55
	v_pk_add_f16 v45, v38, v36
	v_pk_add_f16 v52, v39, v59
	v_fma_f16 v36, v63, s12, v67
	v_fma_f16 v39, v95, s17, -v96
	v_add_f16_e32 v48, v175, v88
	v_add_f16_e32 v88, v178, v90
	;; [unrolled: 1-line block ×7, first 2 shown]
	v_fma_f16 v50, v31, s14, v97
	v_add_f16_e32 v44, v153, v44
	v_add_f16_e32 v149, v189, v92
	;; [unrolled: 1-line block ×3, first 2 shown]
	v_fma_f16 v40, v63, s21, v112
	v_add_f16_e32 v36, v50, v36
	v_fma_f16 v50, v99, s21, -v100
	v_add_f16_e32 v44, v163, v44
	v_add_f16_e32 v40, v40, v105
	v_fma_f16 v41, v95, s21, -v115
	v_add_f16_e32 v39, v50, v39
	v_fma_f16 v50, v31, s17, v122
	v_mul_f16_e32 v193, 0xb3a8, v53
	v_add_f16_e32 v44, v173, v44
	v_add_f16_e32 v41, v41, v120
	v_fma_f16 v42, v63, s19, v118
	v_add_f16_e32 v40, v50, v40
	v_fma_f16 v50, v99, s17, -v123
	v_fma_f16 v194, v191, s21, v193
	v_fma_f16 v193, v191, s21, -v193
	v_add_f16_e32 v44, v183, v44
	v_add_f16_e32 v42, v42, v113
	v_fma_f16 v43, v95, s19, -v121
	v_add_f16_e32 v41, v50, v41
	v_fma_f16 v50, v31, s13, v124
	v_add_f16_e32 v93, v188, v88
	v_add_f16_e32 v88, v193, v44
	v_add_f16_e32 v43, v43, v108
	v_fma_f16 v44, v63, s14, v114
	v_add_f16_e32 v42, v50, v42
	v_fma_f16 v50, v99, s13, -v125
	v_add_f16_e32 v44, v44, v85
	v_fma_f16 v49, v95, s14, -v138
	v_add_f16_e32 v43, v50, v43
	v_fma_f16 v50, v31, s12, v139
	v_add_f16_e32 v49, v49, v147
	v_add_f16_e32 v44, v50, v44
	v_fma_f16 v50, v99, s12, -v140
	v_add_f16_e32 v49, v50, v49
	v_fma_f16 v50, v61, s17, v101
	v_add_f16_e32 v36, v50, v36
	v_fma_f16 v50, v68, s19, -v103
	v_add_f16_e32 v39, v50, v39
	v_fma_f16 v50, v61, s13, v126
	;; [unrolled: 4-line block ×5, first 2 shown]
	v_add_f16_e32 v36, v50, v36
	v_fma_f16 v18, v66, s21, v18
	v_add_f16_e32 v36, v18, v36
	v_add_f16_e32 v18, v28, v148
	;; [unrolled: 1-line block ×4, first 2 shown]
	v_fma_f16 v50, v106, s14, -v107
	v_add_f16_e32 v18, v65, v18
	v_add_f16_e32 v39, v50, v39
	v_fma_f16 v50, v62, s12, v130
	v_add_f16_e32 v28, v109, v18
	v_fma_f16 v18, v110, s13, -v111
	v_add_f16_e32 v40, v50, v40
	v_fma_f16 v50, v62, s21, v132
	v_add_f16_e32 v29, v18, v39
	v_fma_f16 v18, v66, s19, v134
	v_add_f16_e32 v42, v50, v42
	v_fma_f16 v50, v106, s21, -v133
	v_add_f16_e32 v30, v18, v40
	v_fma_f16 v18, v66, s12, v136
	v_add_f16_e32 v43, v50, v43
	v_fma_f16 v50, v62, s13, v143
	v_add_f16_e32 v39, v18, v42
	v_fma_f16 v18, v110, s12, -v137
	v_mul_f16_e32 v195, 0x3770, v53
	v_mul_f16_e32 v197, 0xb94e, v53
	;; [unrolled: 1-line block ×4, first 2 shown]
	v_add_f16_e32 v44, v50, v44
	v_fma_f16 v53, v106, s13, -v144
	v_add_f16_e32 v40, v18, v43
	v_fma_f16 v18, v66, s17, v145
	v_add_f16_e32 v49, v53, v49
	v_add_f16_e32 v42, v18, v44
	v_fma_f16 v18, v110, s17, -v146
	v_add_f16_e32 v43, v18, v49
	v_pk_mul_f16 v18, v63, s13 op_sel_hi:[1,0]
	v_pk_fma_f16 v44, v32, s22, v18 op_sel:[0,0,1] op_sel_hi:[1,0,0] neg_lo:[1,0,0] neg_hi:[1,0,0]
	v_pk_fma_f16 v18, v32, s22, v18 op_sel:[0,0,1] op_sel_hi:[1,0,0]
	v_pk_add_f16 v16, v18, v16
	v_pk_mul_f16 v18, v31, s19 op_sel_hi:[1,0]
	v_pk_fma_f16 v31, v27, s18, v18 op_sel:[0,0,1] op_sel_hi:[1,0,0] neg_lo:[1,0,0] neg_hi:[1,0,0]
	v_pk_fma_f16 v18, v27, s18, v18 op_sel:[0,0,1] op_sel_hi:[1,0,0]
	v_pk_add_f16 v44, v44, v116
	v_pk_add_f16 v16, v18, v16
	v_pk_mul_f16 v18, v61, s12 op_sel_hi:[1,0]
	v_pk_add_f16 v31, v31, v44
	v_pk_fma_f16 v27, v33, s25, v18 op_sel:[0,0,1] op_sel_hi:[1,0,0] neg_lo:[1,0,0] neg_hi:[1,0,0]
	v_pk_add_f16 v27, v27, v31
	v_pk_fma_f16 v18, v33, s25, v18 op_sel:[0,0,1] op_sel_hi:[1,0,0]
	v_pk_mul_f16 v31, v62, s17 op_sel_hi:[1,0]
	v_pk_add_f16 v16, v18, v16
	v_pk_fma_f16 v18, v34, s16, v31 op_sel:[0,0,1] op_sel_hi:[1,0,0] neg_lo:[1,0,0] neg_hi:[1,0,0]
	v_pk_fma_f16 v31, v34, s16, v31 op_sel:[0,0,1] op_sel_hi:[1,0,0]
	v_pk_add_f16 v16, v31, v16
	v_pk_mul_f16 v31, v66, s14 op_sel_hi:[1,0]
	v_pk_add_f16 v27, v18, v27
	v_pk_fma_f16 v33, v19, s20, v31 op_sel:[0,0,1] op_sel_hi:[1,0,0] neg_lo:[1,0,0] neg_hi:[1,0,0]
	v_pk_mul_f16 v32, v19, s31
	v_pk_add_f16 v27, v33, v27
	v_mul_f16_e32 v33, 0xb94e, v19
	v_pk_fma_f16 v19, v19, s20, v31 op_sel:[0,0,1] op_sel_hi:[1,0,0]
	v_pk_add_f16 v16, v19, v16
	v_pk_add_f16 v38, v94, v119
	v_alignbit_b32 v19, v27, v16, 16
	v_alignbit_b32 v16, v16, v27, 16
	v_pk_add_f16 v38, v98, v38
	v_fma_f16 v50, v106, s12, -v131
	ds_write2_b32 v86, v16, v19 offset0:6 offset1:7
	v_pack_b32_f16 v16, v39, v40
	v_pack_b32_f16 v19, v42, v43
	v_pk_add_f16 v38, v102, v38
	ds_write2_b32 v86, v19, v16 offset0:8 offset1:9
	v_pack_b32_f16 v16, v50, v64
	v_bfi_b32 v19, s28, v41, v32
	v_add_f16_sdwa v89, v89, v0 dst_sel:DWORD dst_unused:UNUSED_PAD src0_sel:DWORD src1_sel:WORD_1
	v_pk_add_f16 v16, v16, v19
	v_bfi_b32 v19, s28, v33, v38
	v_fma_f16 v196, v191, s13, v195
	v_fma_f16 v195, v191, s13, -v195
	v_fma_f16 v200, v191, s12, v199
	v_fma_f16 v199, v191, s12, -v199
	v_add_f16_e32 v89, v154, v89
	s_load_dwordx2 s[12:13], s[4:5], 0x8
	v_pk_add_f16 v19, v135, v19 neg_lo:[0,1] neg_hi:[0,1]
	v_pk_add_f16 v17, v17, v38
	v_add_f16_e32 v89, v164, v89
	v_bfi_b32 v17, s28, v19, v17
	v_add_f16_e32 v89, v174, v89
	s_movk_i32 s4, 0x5b
	v_pk_add_f16 v16, v17, v16
	v_fma_f16 v198, v191, s19, v197
	v_fma_f16 v197, v191, s19, -v197
	v_fma_f16 v202, v191, s17, v201
	v_fma_f16 v191, v191, s17, -v201
	v_add_f16_e32 v87, v184, v89
	v_add_f16_e32 v89, v185, v48
	;; [unrolled: 1-line block ×4, first 2 shown]
	v_add_co_u32_e32 v49, vcc, s4, v81
	v_alignbit_b32 v17, v29, v16, 16
	v_pack_b32_f16 v16, v30, v16
	v_add_f16_e32 v46, v194, v87
	v_add_f16_e32 v48, v196, v51
	;; [unrolled: 1-line block ×10, first 2 shown]
	ds_write2_b32 v86, v16, v17 offset0:10 offset1:11
	v_pack_b32_f16 v16, v36, v28
	v_mul_u32_u24_e32 v87, 13, v49
	ds_write_b32 v86, v16 offset:48
	s_and_saveexec_b64 s[4:5], s[0:1]
	s_cbranch_execz .LBB0_7
; %bb.6:
	v_pk_add_f16 v0, v1, v0
	v_pk_add_f16 v0, v6, v0
	;; [unrolled: 1-line block ×11, first 2 shown]
	s_mov_b32 s14, 0x5040100
	v_lshl_add_u32 v1, v87, 2, v84
	v_pk_add_f16 v0, v35, v0
	v_perm_b32 v2, v46, v12, s14
	ds_write2_b32 v1, v0, v2 offset1:1
	v_perm_b32 v0, v47, v14, s14
	v_perm_b32 v2, v48, v13, s14
	ds_write2_b32 v1, v2, v0 offset0:2 offset1:3
	v_perm_b32 v0, v51, v18, s14
	v_perm_b32 v2, v54, v15, s14
	ds_write2_b32 v1, v2, v0 offset0:4 offset1:5
	v_bfi_b32 v0, s28, v45, v52
	v_bfi_b32 v2, s28, v52, v45
	ds_write2_b32 v1, v2, v0 offset0:6 offset1:7
	v_perm_b32 v0, v91, v26, s14
	v_perm_b32 v2, v93, v25, s14
	ds_write2_b32 v1, v2, v0 offset0:8 offset1:9
	v_perm_b32 v0, v89, v24, s14
	v_perm_b32 v2, v90, v23, s14
	ds_write2_b32 v1, v2, v0 offset0:10 offset1:11
	v_perm_b32 v0, v88, v92, s14
	ds_write_b32 v1, v0 offset:48
.LBB0_7:
	s_or_b64 exec, exec, s[4:5]
	v_add_u32_e32 v2, 0xc00, v69
	s_waitcnt lgkmcnt(0)
	s_barrier
	v_add_u32_e32 v1, 0x400, v69
	ds_read2_b32 v[39:40], v2 offset0:12 offset1:103
	v_add_u32_e32 v2, 0xe00, v69
	v_add_u32_e32 v0, 0x200, v69
	ds_read2_b32 v[35:36], v1 offset0:134 offset1:225
	v_add_u32_e32 v1, 0x800, v69
	ds_read2_b32 v[41:42], v2 offset0:79 offset1:170
	v_add_u32_e32 v2, 0x1000, v69
	ds_read2_b32 v[16:17], v69 offset1:91
	ds_read2_b32 v[33:34], v0 offset0:67 offset1:158
	ds_read2_b32 v[37:38], v1 offset0:73 offset1:164
	;; [unrolled: 1-line block ×3, first 2 shown]
	v_cmp_gt_u16_e32 vcc, 13, v81
	v_lshrrev_b32_e32 v53, 16, v45
	s_and_saveexec_b64 s[4:5], vcc
	s_cbranch_execz .LBB0_9
; %bb.8:
	ds_read2_b32 v[12:13], v0 offset0:54 offset1:249
	ds_read2_b32 v[14:15], v1 offset0:60 offset1:255
	v_add_u32_e32 v0, 0xf00, v69
	ds_read2_b32 v[18:19], v0 offset0:2 offset1:197
	ds_read_b32 v45, v69 offset:5408
	s_mov_b32 s14, 0xffff
	s_waitcnt lgkmcnt(3)
	v_lshrrev_b32_e32 v46, 16, v12
	v_lshrrev_b32_e32 v48, 16, v13
	s_waitcnt lgkmcnt(2)
	v_lshrrev_b32_e32 v47, 16, v14
	v_lshrrev_b32_e32 v54, 16, v15
	;; [unrolled: 3-line block ×3, first 2 shown]
	s_waitcnt lgkmcnt(0)
	v_bfi_b32 v52, s14, v19, v45
.LBB0_9:
	s_or_b64 exec, exec, s[4:5]
	s_movk_i32 s4, 0x4f
	v_mul_lo_u16_sdwa v0, v81, s4 dst_sel:DWORD dst_unused:UNUSED_PAD src0_sel:BYTE_0 src1_sel:DWORD
	v_mul_lo_u16_sdwa v2, v49, s4 dst_sel:DWORD dst_unused:UNUSED_PAD src0_sel:BYTE_0 src1_sel:DWORD
	v_lshrrev_b16_e32 v19, 10, v0
	v_lshrrev_b16_e32 v56, 10, v2
	v_mul_lo_u16_e32 v0, 13, v19
	v_mul_lo_u16_e32 v2, 13, v56
	v_sub_u16_e32 v55, v81, v0
	v_mov_b32_e32 v0, 6
	v_sub_u16_e32 v57, v49, v2
	v_mul_u32_u24_sdwa v1, v55, v0 dst_sel:DWORD dst_unused:UNUSED_PAD src0_sel:BYTE_0 src1_sel:DWORD
	v_mul_u32_u24_sdwa v0, v57, v0 dst_sel:DWORD dst_unused:UNUSED_PAD src0_sel:BYTE_0 src1_sel:DWORD
	s_movk_i32 s4, 0xb6
	v_lshlrev_b32_e32 v1, 2, v1
	v_lshlrev_b32_e32 v0, 2, v0
	s_movk_i32 s14, 0x4ec5
	v_add_co_u32_e64 v50, s[4:5], s4, v81
	global_load_dwordx4 v[4:7], v1, s[12:13]
	global_load_dwordx2 v[31:32], v1, s[12:13] offset:16
	global_load_dwordx4 v[8:11], v0, s[12:13]
	global_load_dwordx2 v[29:30], v0, s[12:13] offset:16
	v_mul_u32_u24_sdwa v0, v50, s14 dst_sel:DWORD dst_unused:UNUSED_PAD src0_sel:WORD_0 src1_sel:DWORD
	v_lshrrev_b32_e32 v0, 18, v0
	v_mul_lo_u16_e32 v0, 13, v0
	v_sub_u16_e32 v58, v50, v0
	v_mul_lo_u16_e32 v0, 6, v58
	v_lshlrev_b32_e32 v59, 2, v0
	global_load_dwordx4 v[0:3], v59, s[12:13]
	global_load_dwordx2 v[27:28], v59, s[12:13] offset:16
	s_waitcnt lgkmcnt(2)
	v_lshrrev_b32_e32 v59, 16, v33
	v_lshrrev_b32_e32 v60, 16, v35
	;; [unrolled: 1-line block ×3, first 2 shown]
	s_waitcnt lgkmcnt(0)
	v_lshrrev_b32_e32 v64, 16, v43
	v_lshrrev_b32_e32 v61, 16, v37
	;; [unrolled: 1-line block ×7, first 2 shown]
	s_movk_i32 s4, 0x2b26
	s_movk_i32 s5, 0x3b00
	s_mov_b32 s14, 0xbcab
	s_movk_i32 s16, 0x39e0
	s_mov_b32 s17, 0xb9e0
	;; [unrolled: 2-line block ×3, first 2 shown]
	v_lshrrev_b32_e32 v67, 16, v38
	v_lshrrev_b32_e32 v68, 16, v40
	s_movk_i32 s20, 0x370e
	s_waitcnt vmcnt(0)
	s_barrier
	v_mul_f16_sdwa v95, v59, v4 dst_sel:DWORD dst_unused:UNUSED_PAD src0_sel:DWORD src1_sel:WORD_1
	v_mul_f16_sdwa v96, v33, v4 dst_sel:DWORD dst_unused:UNUSED_PAD src0_sel:DWORD src1_sel:WORD_1
	v_fma_f16 v33, v33, v4, -v95
	v_fma_f16 v59, v59, v4, v96
	v_mul_f16_sdwa v97, v60, v5 dst_sel:DWORD dst_unused:UNUSED_PAD src0_sel:DWORD src1_sel:WORD_1
	v_mul_f16_sdwa v98, v35, v5 dst_sel:DWORD dst_unused:UNUSED_PAD src0_sel:DWORD src1_sel:WORD_1
	;; [unrolled: 1-line block ×5, first 2 shown]
	v_fma_f16 v95, v13, v0, -v95
	v_mul_f16_sdwa v13, v13, v0 dst_sel:DWORD dst_unused:UNUSED_PAD src0_sel:DWORD src1_sel:WORD_1
	v_fma_f16 v13, v48, v0, v13
	v_mul_f16_sdwa v48, v47, v1 dst_sel:DWORD dst_unused:UNUSED_PAD src0_sel:DWORD src1_sel:WORD_1
	v_fma_f16 v48, v14, v1, -v48
	v_mul_f16_sdwa v14, v14, v1 dst_sel:DWORD dst_unused:UNUSED_PAD src0_sel:DWORD src1_sel:WORD_1
	v_fma_f16 v14, v47, v1, v14
	v_mul_f16_sdwa v47, v54, v2 dst_sel:DWORD dst_unused:UNUSED_PAD src0_sel:DWORD src1_sel:WORD_1
	;; [unrolled: 4-line block ×4, first 2 shown]
	v_fma_f16 v51, v52, v27, -v51
	v_mul_f16_sdwa v96, v52, v27 dst_sel:DWORD dst_unused:UNUSED_PAD src0_sel:DWORD src1_sel:WORD_1
	v_lshrrev_b32_e32 v52, 16, v52
	v_mul_f16_sdwa v105, v64, v32 dst_sel:DWORD dst_unused:UNUSED_PAD src0_sel:DWORD src1_sel:WORD_1
	v_mul_f16_sdwa v106, v43, v32 dst_sel:DWORD dst_unused:UNUSED_PAD src0_sel:DWORD src1_sel:WORD_1
	v_fma_f16 v53, v53, v27, v96
	v_mul_f16_sdwa v96, v52, v28 dst_sel:DWORD dst_unused:UNUSED_PAD src0_sel:DWORD src1_sel:WORD_1
	v_mul_f16_sdwa v99, v61, v6 dst_sel:DWORD dst_unused:UNUSED_PAD src0_sel:DWORD src1_sel:WORD_1
	v_mul_f16_sdwa v100, v37, v6 dst_sel:DWORD dst_unused:UNUSED_PAD src0_sel:DWORD src1_sel:WORD_1
	v_mul_f16_sdwa v101, v62, v7 dst_sel:DWORD dst_unused:UNUSED_PAD src0_sel:DWORD src1_sel:WORD_1
	v_mul_f16_sdwa v102, v39, v7 dst_sel:DWORD dst_unused:UNUSED_PAD src0_sel:DWORD src1_sel:WORD_1
	v_fma_f16 v35, v35, v5, -v97
	v_fma_f16 v60, v60, v5, v98
	v_fma_f16 v41, v41, v31, -v103
	v_fma_f16 v63, v63, v31, v104
	;; [unrolled: 2-line block ×3, first 2 shown]
	v_fma_f16 v96, v45, v28, -v96
	v_mul_f16_sdwa v45, v45, v28 dst_sel:DWORD dst_unused:UNUSED_PAD src0_sel:DWORD src1_sel:WORD_1
	v_fma_f16 v37, v37, v6, -v99
	v_fma_f16 v61, v61, v6, v100
	v_fma_f16 v39, v39, v7, -v101
	v_fma_f16 v62, v62, v7, v102
	v_fma_f16 v45, v52, v28, v45
	v_add_f16_e32 v52, v33, v43
	v_add_f16_e32 v97, v59, v64
	v_sub_f16_e32 v33, v33, v43
	v_sub_f16_e32 v43, v59, v64
	v_add_f16_e32 v59, v35, v41
	v_add_f16_e32 v64, v60, v63
	v_sub_f16_e32 v35, v35, v41
	v_sub_f16_e32 v41, v60, v63
	;; [unrolled: 4-line block ×4, first 2 shown]
	v_sub_f16_e32 v52, v52, v60
	v_sub_f16_e32 v97, v97, v63
	v_sub_f16_e32 v59, v60, v59
	v_sub_f16_e32 v64, v63, v64
	v_add_f16_e32 v100, v37, v35
	v_add_f16_e32 v101, v39, v41
	v_sub_f16_e32 v102, v37, v35
	v_sub_f16_e32 v103, v39, v41
	;; [unrolled: 1-line block ×4, first 2 shown]
	v_add_f16_e32 v60, v60, v61
	v_add_f16_e32 v61, v63, v62
	v_sub_f16_e32 v37, v33, v37
	v_sub_f16_e32 v39, v43, v39
	v_add_f16_e32 v33, v100, v33
	v_add_f16_e32 v43, v101, v43
	;; [unrolled: 1-line block ×3, first 2 shown]
	v_add_f16_sdwa v16, v16, v61 dst_sel:DWORD dst_unused:UNUSED_PAD src0_sel:WORD_1 src1_sel:DWORD
	v_mul_f16_e32 v52, 0x3a52, v52
	v_mul_f16_e32 v63, 0x3a52, v97
	;; [unrolled: 1-line block ×8, first 2 shown]
	v_mul_f16_sdwa v107, v65, v8 dst_sel:DWORD dst_unused:UNUSED_PAD src0_sel:DWORD src1_sel:WORD_1
	v_mul_f16_sdwa v108, v34, v8 dst_sel:DWORD dst_unused:UNUSED_PAD src0_sel:DWORD src1_sel:WORD_1
	;; [unrolled: 1-line block ×8, first 2 shown]
	v_fma_f16 v60, v60, s14, v62
	v_fma_f16 v61, v61, s14, v16
	v_fma_f16 v59, v59, s4, v52
	v_fma_f16 v64, v64, s4, v63
	v_fma_f16 v97, v98, s16, -v97
	v_fma_f16 v100, v99, s16, -v100
	;; [unrolled: 1-line block ×4, first 2 shown]
	v_fma_f16 v98, v37, s18, v101
	v_fma_f16 v99, v39, s18, v102
	v_fma_f16 v35, v35, s5, -v101
	v_fma_f16 v37, v37, s19, -v103
	;; [unrolled: 1-line block ×3, first 2 shown]
	v_mul_f16_sdwa v111, v67, v10 dst_sel:DWORD dst_unused:UNUSED_PAD src0_sel:DWORD src1_sel:WORD_1
	v_mul_f16_sdwa v112, v38, v10 dst_sel:DWORD dst_unused:UNUSED_PAD src0_sel:DWORD src1_sel:WORD_1
	;; [unrolled: 1-line block ×4, first 2 shown]
	v_fma_f16 v34, v34, v8, -v107
	v_fma_f16 v65, v65, v8, v108
	v_fma_f16 v36, v36, v9, -v109
	v_fma_f16 v66, v66, v9, v110
	;; [unrolled: 2-line block ×4, first 2 shown]
	v_fma_f16 v41, v41, s5, -v102
	v_add_f16_e32 v59, v59, v60
	v_add_f16_e32 v64, v64, v61
	;; [unrolled: 1-line block ×6, first 2 shown]
	v_fma_f16 v61, v33, s20, v98
	v_fma_f16 v63, v43, s20, v99
	v_fma_f16 v35, v33, s20, v35
	v_fma_f16 v33, v33, s20, v37
	v_fma_f16 v37, v43, s20, v39
	v_fma_f16 v38, v38, v10, -v111
	v_fma_f16 v67, v67, v10, v112
	v_fma_f16 v40, v40, v11, -v113
	v_fma_f16 v68, v68, v11, v114
	v_fma_f16 v41, v43, s20, v41
	v_add_f16_e32 v39, v63, v59
	v_sub_f16_e32 v104, v64, v61
	v_add_f16_e32 v105, v37, v52
	v_sub_f16_e32 v106, v60, v33
	v_sub_f16_e32 v37, v52, v37
	v_add_f16_e32 v33, v33, v60
	v_sub_f16_e32 v52, v59, v63
	v_add_f16_e32 v59, v61, v64
	v_add_f16_e32 v43, v34, v44
	;; [unrolled: 1-line block ×5, first 2 shown]
	v_sub_f16_e32 v34, v34, v44
	v_sub_f16_e32 v44, v65, v94
	;; [unrolled: 1-line block ×4, first 2 shown]
	v_add_f16_e32 v64, v38, v40
	v_add_f16_e32 v65, v67, v68
	v_sub_f16_e32 v38, v40, v38
	v_sub_f16_e32 v40, v68, v67
	v_add_f16_e32 v66, v61, v43
	v_add_f16_e32 v67, v63, v60
	v_sub_f16_e32 v107, v97, v41
	v_add_f16_e32 v41, v41, v97
	v_sub_f16_e32 v68, v61, v43
	v_sub_f16_e32 v85, v63, v60
	;; [unrolled: 1-line block ×6, first 2 shown]
	v_add_f16_e32 v94, v38, v36
	v_add_f16_e32 v97, v40, v42
	v_sub_f16_e32 v98, v38, v36
	v_sub_f16_e32 v99, v40, v42
	;; [unrolled: 1-line block ×4, first 2 shown]
	v_add_f16_e32 v64, v64, v66
	v_add_f16_e32 v65, v65, v67
	;; [unrolled: 1-line block ×3, first 2 shown]
	v_sub_f16_e32 v35, v100, v35
	v_sub_f16_e32 v38, v34, v38
	;; [unrolled: 1-line block ×3, first 2 shown]
	v_add_f16_e32 v34, v94, v34
	v_add_f16_e32 v44, v97, v44
	;; [unrolled: 1-line block ×3, first 2 shown]
	v_add_f16_sdwa v17, v17, v65 dst_sel:DWORD dst_unused:UNUSED_PAD src0_sel:WORD_1 src1_sel:DWORD
	v_mul_f16_e32 v43, 0x3a52, v43
	v_mul_f16_e32 v60, 0x3a52, v60
	;; [unrolled: 1-line block ×8, first 2 shown]
	v_fma_f16 v64, v64, s14, v66
	v_fma_f16 v65, v65, s14, v17
	;; [unrolled: 1-line block ×4, first 2 shown]
	v_fma_f16 v67, v68, s16, -v67
	v_fma_f16 v94, v85, s16, -v94
	;; [unrolled: 1-line block ×4, first 2 shown]
	v_fma_f16 v68, v38, s18, v97
	v_fma_f16 v85, v40, s18, v98
	v_fma_f16 v36, v36, s5, -v97
	v_fma_f16 v38, v38, s19, -v99
	;; [unrolled: 1-line block ×4, first 2 shown]
	v_add_f16_e32 v61, v61, v64
	v_add_f16_e32 v63, v63, v65
	v_add_f16_e32 v67, v67, v64
	v_add_f16_e32 v94, v94, v65
	v_add_f16_e32 v43, v43, v64
	v_add_f16_e32 v60, v60, v65
	v_fma_f16 v64, v34, s20, v68
	v_fma_f16 v65, v44, s20, v85
	;; [unrolled: 1-line block ×6, first 2 shown]
	v_add_f16_e32 v40, v65, v61
	v_sub_f16_e32 v68, v63, v64
	v_add_f16_e32 v85, v38, v43
	v_sub_f16_e32 v109, v60, v34
	v_sub_f16_e32 v38, v43, v38
	v_add_f16_e32 v34, v34, v60
	v_sub_f16_e32 v60, v61, v65
	v_add_f16_e32 v61, v64, v63
	v_add_f16_e32 v43, v95, v96
	;; [unrolled: 1-line block ×3, first 2 shown]
	v_sub_f16_e32 v13, v13, v45
	v_add_f16_e32 v45, v48, v51
	v_add_f16_e32 v64, v14, v53
	v_sub_f16_e32 v48, v48, v51
	v_sub_f16_e32 v14, v14, v53
	v_add_f16_e32 v51, v47, v54
	v_add_f16_e32 v53, v15, v18
	v_sub_f16_e32 v47, v54, v47
	v_sub_f16_e32 v15, v18, v15
	v_add_f16_e32 v18, v45, v43
	v_add_f16_e32 v54, v64, v44
	v_sub_f16_e32 v63, v95, v96
	v_sub_f16_e32 v65, v45, v43
	v_sub_f16_e32 v43, v43, v51
	;; [unrolled: 1-line block ×3, first 2 shown]
	v_add_f16_e32 v95, v15, v14
	v_sub_f16_e32 v97, v15, v14
	v_add_f16_e32 v18, v51, v18
	v_add_f16_e32 v51, v53, v54
	v_sub_f16_e32 v15, v13, v15
	v_sub_f16_e32 v14, v14, v13
	v_add_f16_e32 v54, v95, v13
	v_add_f16_e32 v12, v12, v18
	;; [unrolled: 1-line block ×3, first 2 shown]
	v_mul_f16_e32 v46, 0x2b26, v45
	v_mul_f16_e32 v95, 0xb846, v97
	v_sub_f16_e32 v110, v67, v42
	v_add_f16_e32 v111, v36, v94
	v_add_f16_e32 v42, v42, v67
	v_sub_f16_e32 v36, v94, v36
	v_sub_f16_e32 v67, v64, v44
	;; [unrolled: 1-line block ×4, first 2 shown]
	v_add_f16_e32 v94, v47, v48
	v_sub_f16_e32 v96, v47, v48
	v_mul_f16_e32 v43, 0x3a52, v43
	v_mul_f16_e32 v97, 0x3b00, v14
	v_fma_f16 v18, v18, s14, v12
	v_fma_f16 v46, v65, s16, -v46
	v_fma_f16 v14, v14, s5, -v95
	v_sub_f16_e32 v47, v63, v47
	v_sub_f16_e32 v48, v48, v63
	v_add_f16_e32 v53, v94, v63
	v_mul_f16_e32 v44, 0x3a52, v44
	v_mul_f16_e32 v63, 0x2b26, v64
	;; [unrolled: 1-line block ×3, first 2 shown]
	v_fma_f16 v45, v45, s4, v43
	v_add_f16_e32 v46, v46, v18
	v_fma_f16 v14, v54, s20, v14
	v_mul_f16_e32 v96, 0x3b00, v48
	v_fma_f16 v64, v64, s4, v44
	v_fma_f16 v63, v67, s16, -v63
	v_fma_f16 v43, v65, s17, -v43
	;; [unrolled: 1-line block ×3, first 2 shown]
	v_fma_f16 v65, v47, s18, v94
	v_fma_f16 v67, v15, s18, v95
	v_fma_f16 v48, v48, s5, -v94
	v_fma_f16 v15, v15, s19, -v97
	v_add_f16_e32 v94, v45, v18
	v_sub_f16_e32 v45, v46, v14
	v_add_f16_e32 v46, v14, v46
	v_mul_u32_u24_e32 v14, 0x5b, v19
	v_fma_f16 v51, v51, s14, v13
	v_fma_f16 v47, v47, s19, -v96
	v_add_f16_e32 v18, v43, v18
	v_fma_f16 v15, v54, s20, v15
	v_add_u32_sdwa v14, v14, v55 dst_sel:DWORD dst_unused:UNUSED_PAD src0_sel:DWORD src1_sel:BYTE_0
	v_add_f16_e32 v64, v64, v51
	v_add_f16_e32 v63, v63, v51
	;; [unrolled: 1-line block ×3, first 2 shown]
	v_fma_f16 v65, v53, s20, v65
	v_fma_f16 v48, v53, s20, v48
	v_fma_f16 v53, v53, s20, v47
	v_add_f16_e32 v44, v15, v18
	v_sub_f16_e32 v47, v18, v15
	v_lshl_add_u32 v96, v14, 2, v84
	v_pack_b32_f16 v14, v62, v16
	v_pack_b32_f16 v15, v39, v104
	ds_write2_b32 v96, v14, v15 offset1:13
	v_pack_b32_f16 v14, v105, v106
	v_pack_b32_f16 v15, v107, v108
	ds_write2_b32 v96, v14, v15 offset0:26 offset1:39
	v_pack_b32_f16 v14, v41, v35
	v_pack_b32_f16 v15, v37, v33
	ds_write2_b32 v96, v14, v15 offset0:52 offset1:65
	v_pack_b32_f16 v14, v52, v59
	ds_write_b32 v96, v14 offset:312
	v_mul_u32_u24_e32 v14, 0x5b, v56
	v_add_u32_sdwa v14, v14, v57 dst_sel:DWORD dst_unused:UNUSED_PAD src0_sel:DWORD src1_sel:BYTE_0
	v_lshl_add_u32 v97, v14, 2, v84
	v_pack_b32_f16 v14, v66, v17
	v_pack_b32_f16 v15, v40, v68
	ds_write2_b32 v97, v14, v15 offset1:13
	v_pack_b32_f16 v14, v85, v109
	v_pack_b32_f16 v15, v110, v111
	v_fma_f16 v67, v54, s20, v67
	ds_write2_b32 v97, v14, v15 offset0:26 offset1:39
	v_pack_b32_f16 v14, v42, v36
	v_pack_b32_f16 v15, v38, v34
	v_add_f16_e32 v43, v67, v94
	v_sub_f16_e32 v98, v64, v65
	v_sub_f16_e32 v99, v51, v53
	v_add_f16_e32 v100, v48, v63
	v_sub_f16_e32 v101, v63, v48
	v_add_f16_e32 v102, v53, v51
	;; [unrolled: 2-line block ×3, first 2 shown]
	ds_write2_b32 v97, v14, v15 offset0:52 offset1:65
	v_pack_b32_f16 v14, v60, v61
	v_lshl_add_u32 v94, v58, 2, v84
	ds_write_b32 v97, v14 offset:312
	s_and_saveexec_b64 s[4:5], vcc
	s_cbranch_execz .LBB0_11
; %bb.10:
	s_mov_b32 s14, 0x5040100
	v_perm_b32 v12, v13, v12, s14
	v_perm_b32 v13, v98, v43, s14
	v_add_u32_e32 v14, 0x1200, v94
	ds_write2_b32 v14, v12, v13 offset0:122 offset1:135
	v_perm_b32 v12, v99, v44, s14
	v_perm_b32 v13, v100, v45, s14
	v_add_u32_e32 v14, 0x1400, v94
	ds_write2_b32 v14, v12, v13 offset0:20 offset1:33
	v_perm_b32 v12, v101, v46, s14
	v_perm_b32 v13, v102, v47, s14
	ds_write2_b32 v14, v12, v13 offset0:46 offset1:59
	v_perm_b32 v12, v103, v48, s14
	ds_write_b32 v94, v12 offset:5408
.LBB0_11:
	s_or_b64 exec, exec, s[4:5]
	s_movk_i32 s4, 0x6817
	v_mul_u32_u24_sdwa v16, v50, s4 dst_sel:DWORD dst_unused:UNUSED_PAD src0_sel:WORD_0 src1_sel:DWORD
	v_sub_u16_sdwa v17, v50, v16 dst_sel:DWORD dst_unused:UNUSED_PAD src0_sel:DWORD src1_sel:WORD_1
	v_lshrrev_b16_e32 v17, 1, v17
	v_add_u16_sdwa v16, v17, v16 dst_sel:DWORD dst_unused:UNUSED_PAD src0_sel:DWORD src1_sel:WORD_1
	v_lshrrev_b16_e32 v16, 6, v16
	v_mul_lo_u16_e32 v16, 0x5b, v16
	v_sub_u16_e32 v61, v50, v16
	v_lshlrev_b16_e32 v16, 4, v61
	v_lshlrev_b32_e32 v59, 4, v81
	v_mov_b32_e32 v60, s13
	v_add_co_u32_e64 v16, s[4:5], s12, v16
	s_waitcnt lgkmcnt(0)
	s_barrier
	global_load_dwordx4 v[12:15], v59, s[12:13] offset:312
	v_addc_co_u32_e64 v17, s[4:5], 0, v60, s[4:5]
	global_load_dwordx4 v[16:19], v[16:17], off offset:312
	ds_read2_b32 v[33:34], v69 offset1:91
	v_add_u32_e32 v55, 0x200, v69
	v_add_u32_e32 v53, 0x800, v69
	;; [unrolled: 1-line block ×6, first 2 shown]
	ds_read_b32 v64, v69 offset:5096
	ds_read2_b32 v[35:36], v55 offset0:54 offset1:145
	ds_read2_b32 v[37:38], v53 offset0:34 offset1:125
	;; [unrolled: 1-line block ×6, first 2 shown]
	s_waitcnt lgkmcnt(5)
	v_lshrrev_b32_e32 v85, 16, v36
	s_waitcnt lgkmcnt(4)
	v_lshrrev_b32_e32 v95, 16, v37
	;; [unrolled: 2-line block ×4, first 2 shown]
	v_lshrrev_b32_e32 v112, 16, v39
	v_add_co_u32_e64 v59, s[4:5], s12, v59
	v_lshrrev_b32_e32 v105, 16, v41
	v_addc_co_u32_e64 v60, s[4:5], 0, v60, s[4:5]
	s_waitcnt lgkmcnt(0)
	v_lshrrev_b32_e32 v113, 16, v58
	s_movk_i32 s4, 0x3b9c
	s_mov_b32 s16, 0xbb9c
	v_lshrrev_b32_e32 v68, 16, v64
	s_movk_i32 s5, 0x38b4
	s_mov_b32 s17, 0xb8b4
	s_movk_i32 s14, 0x34f2
	v_lshrrev_b32_e32 v66, 16, v33
	v_lshrrev_b32_e32 v107, 16, v38
	;; [unrolled: 1-line block ×7, first 2 shown]
	s_waitcnt vmcnt(0)
	s_barrier
	v_lshlrev_b32_e32 v62, 3, v81
	v_mul_f16_sdwa v114, v85, v12 dst_sel:DWORD dst_unused:UNUSED_PAD src0_sel:DWORD src1_sel:WORD_1
	v_mul_f16_sdwa v115, v36, v12 dst_sel:DWORD dst_unused:UNUSED_PAD src0_sel:DWORD src1_sel:WORD_1
	;; [unrolled: 1-line block ×7, first 2 shown]
	v_fma_f16 v36, v36, v12, -v114
	v_fma_f16 v85, v85, v12, v115
	v_fma_f16 v37, v37, v13, -v116
	v_fma_f16 v40, v40, v14, -v118
	v_mul_f16_sdwa v114, v111, v16 dst_sel:DWORD dst_unused:UNUSED_PAD src0_sel:DWORD src1_sel:WORD_1
	v_mul_f16_sdwa v115, v52, v16 dst_sel:DWORD dst_unused:UNUSED_PAD src0_sel:DWORD src1_sel:WORD_1
	;; [unrolled: 1-line block ×4, first 2 shown]
	v_fma_f16 v105, v105, v15, v121
	v_fma_f16 v52, v52, v16, -v114
	v_fma_f16 v111, v111, v16, v115
	v_fma_f16 v114, v39, v17, -v116
	v_mul_f16_sdwa v39, v39, v17 dst_sel:DWORD dst_unused:UNUSED_PAD src0_sel:DWORD src1_sel:WORD_1
	v_add_f16_e32 v115, v37, v40
	v_fma_f16 v95, v95, v13, v117
	v_fma_f16 v104, v104, v14, v119
	v_fma_f16 v41, v41, v15, -v120
	v_fma_f16 v39, v112, v17, v39
	v_mul_f16_sdwa v112, v113, v18 dst_sel:DWORD dst_unused:UNUSED_PAD src0_sel:DWORD src1_sel:WORD_1
	v_fma_f16 v115, v115, -0.5, v33
	v_sub_f16_e32 v116, v85, v105
	v_fma_f16 v112, v58, v18, -v112
	v_mul_f16_sdwa v58, v58, v18 dst_sel:DWORD dst_unused:UNUSED_PAD src0_sel:DWORD src1_sel:WORD_1
	v_fma_f16 v117, v116, s4, v115
	v_sub_f16_e32 v118, v95, v104
	v_sub_f16_e32 v119, v36, v37
	;; [unrolled: 1-line block ×3, first 2 shown]
	v_fma_f16 v115, v116, s16, v115
	v_fma_f16 v58, v113, v18, v58
	v_mul_f16_sdwa v113, v68, v19 dst_sel:DWORD dst_unused:UNUSED_PAD src0_sel:DWORD src1_sel:WORD_1
	v_fma_f16 v117, v118, s5, v117
	v_add_f16_e32 v119, v119, v120
	v_fma_f16 v115, v118, s17, v115
	v_fma_f16 v113, v64, v19, -v113
	v_mul_f16_sdwa v64, v64, v19 dst_sel:DWORD dst_unused:UNUSED_PAD src0_sel:DWORD src1_sel:WORD_1
	v_fma_f16 v117, v119, s14, v117
	v_fma_f16 v115, v119, s14, v115
	v_add_f16_e32 v119, v36, v41
	v_fma_f16 v64, v68, v19, v64
	v_add_f16_e32 v68, v33, v36
	v_fma_f16 v33, v119, -0.5, v33
	v_add_f16_e32 v68, v68, v37
	v_fma_f16 v119, v118, s16, v33
	v_fma_f16 v33, v118, s4, v33
	v_add_f16_e32 v118, v95, v104
	v_add_f16_e32 v68, v68, v40
	v_sub_f16_e32 v120, v37, v36
	v_sub_f16_e32 v121, v40, v41
	v_fma_f16 v118, v118, -0.5, v66
	v_sub_f16_e32 v36, v36, v41
	v_add_f16_e32 v68, v68, v41
	v_fma_f16 v119, v116, s5, v119
	v_add_f16_e32 v120, v120, v121
	v_fma_f16 v33, v116, s17, v33
	v_fma_f16 v41, v36, s16, v118
	v_sub_f16_e32 v37, v37, v40
	v_fma_f16 v119, v120, s14, v119
	v_fma_f16 v33, v120, s14, v33
	v_fma_f16 v40, v37, s17, v41
	v_sub_f16_e32 v41, v85, v95
	v_sub_f16_e32 v120, v105, v104
	v_fma_f16 v118, v36, s4, v118
	v_add_f16_e32 v41, v41, v120
	v_fma_f16 v118, v37, s5, v118
	v_fma_f16 v40, v41, s14, v40
	;; [unrolled: 1-line block ×3, first 2 shown]
	v_add_f16_e32 v118, v85, v105
	v_mul_f16_sdwa v124, v107, v13 dst_sel:DWORD dst_unused:UNUSED_PAD src0_sel:DWORD src1_sel:WORD_1
	v_mul_f16_sdwa v126, v108, v14 dst_sel:DWORD dst_unused:UNUSED_PAD src0_sel:DWORD src1_sel:WORD_1
	v_add_f16_e32 v116, v66, v85
	v_fma_f16 v66, v118, -0.5, v66
	v_mul_f16_sdwa v123, v51, v12 dst_sel:DWORD dst_unused:UNUSED_PAD src0_sel:DWORD src1_sel:WORD_1
	v_mul_f16_sdwa v125, v38, v13 dst_sel:DWORD dst_unused:UNUSED_PAD src0_sel:DWORD src1_sel:WORD_1
	;; [unrolled: 1-line block ×4, first 2 shown]
	v_fma_f16 v38, v38, v13, -v124
	v_fma_f16 v57, v57, v14, -v126
	v_add_f16_e32 v116, v116, v95
	v_fma_f16 v118, v37, s4, v66
	v_sub_f16_e32 v85, v95, v85
	v_sub_f16_e32 v95, v104, v105
	v_fma_f16 v37, v37, s16, v66
	v_mul_f16_sdwa v122, v106, v12 dst_sel:DWORD dst_unused:UNUSED_PAD src0_sel:DWORD src1_sel:WORD_1
	v_mul_f16_sdwa v128, v109, v15 dst_sel:DWORD dst_unused:UNUSED_PAD src0_sel:DWORD src1_sel:WORD_1
	v_fma_f16 v106, v106, v12, v123
	v_fma_f16 v109, v109, v15, v129
	;; [unrolled: 1-line block ×3, first 2 shown]
	v_add_f16_e32 v85, v85, v95
	v_fma_f16 v36, v36, s5, v37
	v_add_f16_e32 v66, v38, v57
	v_fma_f16 v51, v51, v12, -v122
	v_fma_f16 v107, v107, v13, v125
	v_fma_f16 v108, v108, v14, v127
	v_fma_f16 v42, v42, v15, -v128
	v_add_f16_e32 v116, v116, v104
	v_fma_f16 v95, v85, s14, v118
	v_fma_f16 v36, v85, s14, v36
	v_fma_f16 v66, v66, -0.5, v34
	v_sub_f16_e32 v85, v106, v109
	v_add_f16_e32 v116, v116, v105
	v_fma_f16 v104, v85, s4, v66
	v_sub_f16_e32 v105, v107, v108
	v_sub_f16_e32 v118, v51, v38
	;; [unrolled: 1-line block ×3, first 2 shown]
	v_fma_f16 v66, v85, s16, v66
	v_fma_f16 v104, v105, s5, v104
	v_add_f16_e32 v118, v118, v120
	v_fma_f16 v66, v105, s17, v66
	v_add_f16_e32 v37, v34, v51
	v_fma_f16 v104, v118, s14, v104
	v_fma_f16 v66, v118, s14, v66
	v_add_f16_e32 v118, v51, v42
	v_add_f16_e32 v37, v37, v38
	v_fma_f16 v34, v118, -0.5, v34
	v_add_f16_e32 v37, v37, v57
	v_fma_f16 v118, v105, s16, v34
	v_sub_f16_e32 v120, v38, v51
	v_sub_f16_e32 v121, v57, v42
	v_fma_f16 v34, v105, s4, v34
	v_add_f16_e32 v105, v107, v108
	v_add_f16_e32 v37, v37, v42
	v_fma_f16 v118, v85, s5, v118
	v_add_f16_e32 v120, v120, v121
	v_fma_f16 v34, v85, s17, v34
	v_fma_f16 v105, v105, -0.5, v67
	v_sub_f16_e32 v42, v51, v42
	v_fma_f16 v118, v120, s14, v118
	v_fma_f16 v34, v120, s14, v34
	;; [unrolled: 1-line block ×3, first 2 shown]
	v_sub_f16_e32 v38, v38, v57
	v_sub_f16_e32 v57, v106, v107
	;; [unrolled: 1-line block ×3, first 2 shown]
	v_fma_f16 v105, v42, s4, v105
	v_fma_f16 v51, v38, s17, v51
	v_add_f16_e32 v57, v57, v120
	v_fma_f16 v105, v38, s5, v105
	v_fma_f16 v51, v57, s14, v51
	;; [unrolled: 1-line block ×3, first 2 shown]
	v_add_f16_e32 v105, v106, v109
	v_add_f16_e32 v85, v67, v106
	v_fma_f16 v67, v105, -0.5, v67
	v_add_f16_e32 v85, v85, v107
	v_fma_f16 v105, v38, s4, v67
	v_sub_f16_e32 v106, v107, v106
	v_sub_f16_e32 v107, v108, v109
	v_fma_f16 v38, v38, s16, v67
	v_fma_f16 v105, v42, s17, v105
	v_add_f16_e32 v106, v106, v107
	v_fma_f16 v38, v42, s5, v38
	v_add_f16_e32 v67, v114, v112
	v_add_f16_e32 v85, v85, v108
	v_fma_f16 v105, v106, s14, v105
	v_fma_f16 v38, v106, s14, v38
	v_fma_f16 v67, v67, -0.5, v35
	v_sub_f16_e32 v106, v111, v64
	v_add_f16_e32 v85, v85, v109
	v_fma_f16 v107, v106, s4, v67
	v_sub_f16_e32 v108, v39, v58
	v_sub_f16_e32 v109, v52, v114
	;; [unrolled: 1-line block ×3, first 2 shown]
	v_fma_f16 v67, v106, s16, v67
	v_fma_f16 v107, v108, s5, v107
	v_add_f16_e32 v109, v109, v120
	v_fma_f16 v67, v108, s17, v67
	v_fma_f16 v107, v109, s14, v107
	;; [unrolled: 1-line block ×3, first 2 shown]
	v_add_f16_e32 v109, v52, v113
	v_add_f16_e32 v42, v35, v52
	v_fma_f16 v35, v109, -0.5, v35
	v_add_f16_e32 v42, v42, v114
	v_fma_f16 v109, v108, s16, v35
	v_sub_f16_e32 v120, v114, v52
	v_sub_f16_e32 v121, v112, v113
	v_fma_f16 v35, v108, s4, v35
	v_add_f16_e32 v108, v39, v58
	v_add_f16_e32 v42, v42, v112
	v_fma_f16 v109, v106, s5, v109
	v_add_f16_e32 v120, v120, v121
	v_fma_f16 v35, v106, s17, v35
	v_fma_f16 v108, v108, -0.5, v110
	v_sub_f16_e32 v52, v52, v113
	v_add_f16_e32 v42, v42, v113
	v_fma_f16 v109, v120, s14, v109
	v_fma_f16 v35, v120, s14, v35
	;; [unrolled: 1-line block ×3, first 2 shown]
	v_sub_f16_e32 v112, v114, v112
	v_sub_f16_e32 v114, v111, v39
	;; [unrolled: 1-line block ×3, first 2 shown]
	v_fma_f16 v108, v52, s4, v108
	v_add_f16_e32 v106, v110, v111
	v_fma_f16 v113, v112, s17, v113
	v_add_f16_e32 v114, v114, v120
	;; [unrolled: 2-line block ×3, first 2 shown]
	v_fma_f16 v113, v114, s14, v113
	v_fma_f16 v108, v114, s14, v108
	v_add_f16_e32 v114, v111, v64
	v_add_f16_e32 v106, v106, v58
	v_fma_f16 v110, v114, -0.5, v110
	v_add_f16_e32 v106, v106, v64
	v_fma_f16 v114, v112, s4, v110
	v_sub_f16_e32 v39, v39, v111
	v_sub_f16_e32 v58, v58, v64
	v_fma_f16 v64, v112, s16, v110
	v_fma_f16 v114, v52, s17, v114
	v_add_f16_e32 v39, v39, v58
	v_fma_f16 v52, v52, s5, v64
	v_fma_f16 v58, v39, s14, v114
	;; [unrolled: 1-line block ×3, first 2 shown]
	v_pack_b32_f16 v52, v68, v116
	v_pack_b32_f16 v40, v117, v40
	ds_write2_b32 v69, v52, v40 offset1:91
	v_pack_b32_f16 v40, v119, v95
	v_pack_b32_f16 v33, v33, v36
	ds_write2_b32 v55, v40, v33 offset0:54 offset1:145
	v_pack_b32_f16 v33, v115, v41
	v_pack_b32_f16 v36, v37, v85
	ds_write2_b32 v63, v33, v36 offset0:108 offset1:199
	;; [unrolled: 3-line block ×3, first 2 shown]
	v_pack_b32_f16 v33, v34, v38
	v_pack_b32_f16 v34, v66, v57
	v_lshl_add_u32 v95, v61, 2, v84
	ds_write2_b32 v65, v33, v34 offset0:88 offset1:179
	v_pack_b32_f16 v33, v42, v106
	v_pack_b32_f16 v34, v107, v113
	v_add_u32_e32 v36, 0xc00, v95
	ds_write2_b32 v36, v33, v34 offset0:142 offset1:233
	v_pack_b32_f16 v33, v109, v58
	v_pack_b32_f16 v34, v35, v39
	v_add_u32_e32 v35, 0x1000, v95
	ds_write2_b32 v35, v33, v34 offset0:68 offset1:159
	v_pack_b32_f16 v33, v67, v108
	ds_write_b32 v95, v33 offset:5096
	v_sub_co_u32_e64 v33, s[4:5], v59, v62
	v_subbrev_co_u32_e64 v34, s[4:5], 0, v60, s[4:5]
	s_waitcnt lgkmcnt(0)
	s_barrier
	global_load_dwordx2 v[33:34], v[33:34], off offset:1768
	v_lshlrev_b32_e32 v35, 3, v49
	global_load_dwordx2 v[35:36], v35, s[12:13] offset:1768
	v_lshlrev_b32_e32 v37, 3, v50
	global_load_dwordx2 v[37:38], v37, s[12:13] offset:1768
	v_add_u32_e32 v39, 0x888, v62
	global_load_dwordx2 v[39:40], v39, s[12:13] offset:1768
	v_add_u32_e32 v41, 0xb60, v62
	global_load_dwordx2 v[41:42], v41, s[12:13] offset:1768
	v_mov_b32_e32 v51, s15
	ds_read2_b32 v[49:50], v69 offset1:91
	v_addc_co_u32_e64 v67, s[2:3], 0, v51, s[2:3]
	ds_read2_b32 v[51:52], v63 offset0:108 offset1:199
	ds_read2_b32 v[57:58], v56 offset0:142 offset1:233
	;; [unrolled: 1-line block ×5, first 2 shown]
	s_waitcnt lgkmcnt(4)
	v_lshrrev_b32_e32 v85, 16, v52
	s_waitcnt lgkmcnt(3)
	v_lshrrev_b32_e32 v104, 16, v57
	;; [unrolled: 2-line block ×3, first 2 shown]
	v_lshrrev_b32_e32 v107, 16, v58
	v_lshrrev_b32_e32 v109, 16, v60
	s_waitcnt lgkmcnt(1)
	v_lshrrev_b32_e32 v110, 16, v63
	s_waitcnt lgkmcnt(0)
	v_lshrrev_b32_e32 v113, 16, v65
	ds_read_b32 v112, v69 offset:5096
	v_lshrrev_b32_e32 v114, 16, v64
	v_lshrrev_b32_e32 v116, 16, v66
	;; [unrolled: 1-line block ×3, first 2 shown]
	s_movk_i32 s2, 0x3aee
	s_waitcnt lgkmcnt(0)
	v_lshrrev_b32_e32 v117, 16, v112
	s_mov_b32 s3, 0xbaee
	ds_read2_b32 v[61:62], v55 offset0:54 offset1:145
	v_lshrrev_b32_e32 v105, 16, v50
	v_lshrrev_b32_e32 v115, 16, v51
	s_movk_i32 s12, 0x1000
	s_waitcnt lgkmcnt(0)
	v_lshrrev_b32_e32 v108, 16, v61
	v_lshrrev_b32_e32 v111, 16, v62
	s_waitcnt vmcnt(4)
	v_mul_f16_sdwa v118, v85, v33 dst_sel:DWORD dst_unused:UNUSED_PAD src0_sel:DWORD src1_sel:WORD_1
	v_fma_f16 v118, v52, v33, -v118
	v_mul_f16_sdwa v52, v52, v33 dst_sel:DWORD dst_unused:UNUSED_PAD src0_sel:DWORD src1_sel:WORD_1
	v_fma_f16 v52, v85, v33, v52
	v_mul_f16_sdwa v85, v104, v34 dst_sel:DWORD dst_unused:UNUSED_PAD src0_sel:DWORD src1_sel:WORD_1
	v_fma_f16 v85, v57, v34, -v85
	v_mul_f16_sdwa v57, v57, v34 dst_sel:DWORD dst_unused:UNUSED_PAD src0_sel:DWORD src1_sel:WORD_1
	v_fma_f16 v57, v104, v34, v57
	s_waitcnt vmcnt(3)
	v_mul_f16_sdwa v104, v106, v35 dst_sel:DWORD dst_unused:UNUSED_PAD src0_sel:DWORD src1_sel:WORD_1
	v_fma_f16 v104, v59, v35, -v104
	v_mul_f16_sdwa v59, v59, v35 dst_sel:DWORD dst_unused:UNUSED_PAD src0_sel:DWORD src1_sel:WORD_1
	v_fma_f16 v59, v106, v35, v59
	v_mul_f16_sdwa v106, v107, v36 dst_sel:DWORD dst_unused:UNUSED_PAD src0_sel:DWORD src1_sel:WORD_1
	v_fma_f16 v106, v58, v36, -v106
	v_mul_f16_sdwa v58, v58, v36 dst_sel:DWORD dst_unused:UNUSED_PAD src0_sel:DWORD src1_sel:WORD_1
	v_fma_f16 v58, v107, v36, v58
	;; [unrolled: 9-line block ×4, first 2 shown]
	s_waitcnt vmcnt(0)
	v_mul_f16_sdwa v114, v116, v41 dst_sel:DWORD dst_unused:UNUSED_PAD src0_sel:DWORD src1_sel:WORD_1
	v_fma_f16 v114, v66, v41, -v114
	v_mul_f16_sdwa v66, v66, v41 dst_sel:DWORD dst_unused:UNUSED_PAD src0_sel:DWORD src1_sel:WORD_1
	v_fma_f16 v66, v116, v41, v66
	v_mul_f16_sdwa v116, v117, v42 dst_sel:DWORD dst_unused:UNUSED_PAD src0_sel:DWORD src1_sel:WORD_1
	v_fma_f16 v116, v112, v42, -v116
	v_mul_f16_sdwa v112, v112, v42 dst_sel:DWORD dst_unused:UNUSED_PAD src0_sel:DWORD src1_sel:WORD_1
	v_add_f16_e32 v119, v118, v85
	v_fma_f16 v112, v117, v42, v112
	v_add_f16_e32 v117, v49, v118
	v_fma_f16 v49, v119, -0.5, v49
	v_sub_f16_e32 v119, v52, v57
	v_fma_f16 v120, v119, s2, v49
	v_fma_f16 v119, v119, s3, v49
	v_add_f16_e32 v49, v68, v52
	v_add_f16_e32 v121, v49, v57
	v_add_f16_e32 v49, v52, v57
	v_fma_f16 v49, v49, -0.5, v68
	v_sub_f16_e32 v52, v118, v85
	v_fma_f16 v57, v52, s3, v49
	v_fma_f16 v52, v52, s2, v49
	v_add_f16_e32 v49, v50, v104
	v_add_f16_e32 v68, v49, v106
	;; [unrolled: 7-line block ×9, first 2 shown]
	v_add_f16_e32 v117, v117, v85
	v_fma_f16 v66, v66, -0.5, v115
	v_sub_f16_e32 v85, v114, v116
	v_fma_f16 v104, v85, s3, v66
	v_fma_f16 v105, v85, s2, v66
	v_pack_b32_f16 v66, v117, v121
	v_lshl_add_u32 v85, v81, 2, v84
	ds_write_b32 v69, v66
	v_pack_b32_f16 v66, v120, v57
	v_pack_b32_f16 v58, v118, v58
	v_add_u32_e32 v57, 0x600, v85
	v_pack_b32_f16 v52, v119, v52
	ds_write2_b32 v57, v66, v58 offset0:71 offset1:162
	v_pack_b32_f16 v58, v122, v59
	v_add_u32_e32 v59, 0xc00, v85
	v_pack_b32_f16 v68, v68, v123
	ds_write2_b32 v59, v52, v58 offset0:142 offset1:233
	v_pack_b32_f16 v52, v106, v125
	ds_write2_b32 v85, v68, v52 offset0:91 offset1:182
	v_pack_b32_f16 v52, v61, v60
	ds_write_b32 v69, v52 offset:2548
	v_pack_b32_f16 v52, v124, v63
	ds_write_b32 v69, v52 offset:4368
	v_pack_b32_f16 v52, v107, v109
	v_add_f16_e32 v51, v51, v112
	ds_write_b32 v85, v52 offset:1092
	v_pack_b32_f16 v52, v62, v64
	ds_write_b32 v69, v52 offset:2912
	v_pack_b32_f16 v52, v108, v65
	v_pack_b32_f16 v51, v110, v51
	ds_write_b32 v69, v52 offset:4732
	ds_write_b32 v85, v51 offset:1456
	v_pack_b32_f16 v51, v49, v104
	ds_write_b32 v69, v51 offset:3276
	v_pack_b32_f16 v51, v50, v105
	ds_write_b32 v69, v51 offset:5096
	v_add_co_u32_e64 v51, s[2:3], s12, v20
	v_addc_co_u32_e64 v52, s[2:3], 0, v67, s[2:3]
	s_waitcnt lgkmcnt(0)
	s_barrier
	global_load_dword v60, v[51:52], off offset:1364
	s_movk_i32 s2, 0x1554
	v_add_co_u32_e64 v51, s[2:3], s2, v20
	v_addc_co_u32_e64 v52, s[2:3], 0, v67, s[2:3]
	global_load_dword v62, v[51:52], off offset:420
	global_load_dword v63, v[51:52], off offset:840
	;; [unrolled: 1-line block ×8, first 2 shown]
	s_movk_i32 s2, 0x2000
	v_add_co_u32_e64 v58, s[2:3], s2, v20
	v_addc_co_u32_e64 v59, s[2:3], 0, v67, s[2:3]
	global_load_dword v67, v[58:59], off offset:1468
	global_load_dword v108, v[58:59], off offset:1888
	;; [unrolled: 1-line block ×4, first 2 shown]
	ds_read2_b32 v[58:59], v69 offset1:105
	s_waitcnt lgkmcnt(0)
	v_lshrrev_b32_e32 v61, 16, v58
	s_waitcnt vmcnt(12)
	v_mul_f16_sdwa v111, v61, v60 dst_sel:DWORD dst_unused:UNUSED_PAD src0_sel:DWORD src1_sel:WORD_1
	v_fma_f16 v111, v58, v60, -v111
	v_mul_f16_sdwa v58, v58, v60 dst_sel:DWORD dst_unused:UNUSED_PAD src0_sel:DWORD src1_sel:WORD_1
	v_fma_f16 v58, v61, v60, v58
	v_pack_b32_f16 v58, v111, v58
	v_lshrrev_b32_e32 v111, 16, v59
	s_waitcnt vmcnt(11)
	v_mul_f16_sdwa v60, v111, v62 dst_sel:DWORD dst_unused:UNUSED_PAD src0_sel:DWORD src1_sel:WORD_1
	v_fma_f16 v112, v59, v62, -v60
	ds_read2_b32 v[60:61], v55 offset0:82 offset1:187
	v_mul_f16_sdwa v59, v59, v62 dst_sel:DWORD dst_unused:UNUSED_PAD src0_sel:DWORD src1_sel:WORD_1
	v_fma_f16 v59, v111, v62, v59
	v_pack_b32_f16 v59, v112, v59
	ds_write2_b32 v69, v58, v59 offset1:105
	s_waitcnt lgkmcnt(1)
	v_lshrrev_b32_e32 v58, 16, v60
	s_waitcnt vmcnt(10)
	v_mul_f16_sdwa v59, v58, v63 dst_sel:DWORD dst_unused:UNUSED_PAD src0_sel:DWORD src1_sel:WORD_1
	v_fma_f16 v59, v60, v63, -v59
	v_mul_f16_sdwa v60, v60, v63 dst_sel:DWORD dst_unused:UNUSED_PAD src0_sel:DWORD src1_sel:WORD_1
	v_fma_f16 v58, v58, v63, v60
	v_lshrrev_b32_e32 v60, 16, v61
	v_pack_b32_f16 v58, v59, v58
	s_waitcnt vmcnt(9)
	v_mul_f16_sdwa v59, v60, v64 dst_sel:DWORD dst_unused:UNUSED_PAD src0_sel:DWORD src1_sel:WORD_1
	v_fma_f16 v111, v61, v64, -v59
	v_add_u32_e32 v59, 0x600, v69
	ds_read2_b32 v[62:63], v59 offset0:36 offset1:141
	v_mul_f16_sdwa v61, v61, v64 dst_sel:DWORD dst_unused:UNUSED_PAD src0_sel:DWORD src1_sel:WORD_1
	v_fma_f16 v60, v60, v64, v61
	v_pack_b32_f16 v60, v111, v60
	ds_write2_b32 v55, v58, v60 offset0:82 offset1:187
	s_waitcnt lgkmcnt(1)
	v_lshrrev_b32_e32 v58, 16, v62
	s_waitcnt vmcnt(8)
	v_mul_f16_sdwa v60, v58, v65 dst_sel:DWORD dst_unused:UNUSED_PAD src0_sel:DWORD src1_sel:WORD_1
	v_mul_f16_sdwa v61, v62, v65 dst_sel:DWORD dst_unused:UNUSED_PAD src0_sel:DWORD src1_sel:WORD_1
	v_fma_f16 v60, v62, v65, -v60
	v_fma_f16 v58, v58, v65, v61
	v_lshrrev_b32_e32 v62, 16, v63
	v_pack_b32_f16 v58, v60, v58
	s_waitcnt vmcnt(7)
	v_mul_f16_sdwa v60, v62, v66 dst_sel:DWORD dst_unused:UNUSED_PAD src0_sel:DWORD src1_sel:WORD_1
	v_fma_f16 v64, v63, v66, -v60
	ds_read2_b32 v[60:61], v53 offset0:118 offset1:223
	v_mul_f16_sdwa v63, v63, v66 dst_sel:DWORD dst_unused:UNUSED_PAD src0_sel:DWORD src1_sel:WORD_1
	v_fma_f16 v62, v62, v66, v63
	v_pack_b32_f16 v62, v64, v62
	ds_write2_b32 v59, v58, v62 offset0:36 offset1:141
	s_waitcnt lgkmcnt(1)
	v_lshrrev_b32_e32 v58, 16, v60
	s_waitcnt vmcnt(6)
	v_mul_f16_sdwa v62, v58, v68 dst_sel:DWORD dst_unused:UNUSED_PAD src0_sel:DWORD src1_sel:WORD_1
	v_fma_f16 v62, v60, v68, -v62
	v_mul_f16_sdwa v60, v60, v68 dst_sel:DWORD dst_unused:UNUSED_PAD src0_sel:DWORD src1_sel:WORD_1
	v_fma_f16 v58, v58, v68, v60
	v_lshrrev_b32_e32 v60, 16, v61
	v_pack_b32_f16 v58, v62, v58
	s_waitcnt vmcnt(5)
	v_mul_f16_sdwa v62, v60, v106 dst_sel:DWORD dst_unused:UNUSED_PAD src0_sel:DWORD src1_sel:WORD_1
	v_fma_f16 v64, v61, v106, -v62
	ds_read2_b32 v[62:63], v56 offset0:72 offset1:177
	v_mul_f16_sdwa v61, v61, v106 dst_sel:DWORD dst_unused:UNUSED_PAD src0_sel:DWORD src1_sel:WORD_1
	v_fma_f16 v60, v60, v106, v61
	v_pack_b32_f16 v60, v64, v60
	ds_write2_b32 v53, v58, v60 offset0:118 offset1:223
	s_waitcnt lgkmcnt(1)
	v_lshrrev_b32_e32 v58, 16, v62
	s_waitcnt vmcnt(4)
	v_mul_f16_sdwa v60, v58, v107 dst_sel:DWORD dst_unused:UNUSED_PAD src0_sel:DWORD src1_sel:WORD_1
	v_mul_f16_sdwa v61, v62, v107 dst_sel:DWORD dst_unused:UNUSED_PAD src0_sel:DWORD src1_sel:WORD_1
	v_fma_f16 v60, v62, v107, -v60
	v_fma_f16 v58, v58, v107, v61
	v_lshrrev_b32_e32 v62, 16, v63
	v_pack_b32_f16 v58, v60, v58
	s_waitcnt vmcnt(0)
	v_mul_f16_sdwa v60, v62, v110 dst_sel:DWORD dst_unused:UNUSED_PAD src0_sel:DWORD src1_sel:WORD_1
	v_fma_f16 v64, v63, v110, -v60
	ds_read2_b32 v[60:61], v54 offset0:26 offset1:131
	v_mul_f16_sdwa v63, v63, v110 dst_sel:DWORD dst_unused:UNUSED_PAD src0_sel:DWORD src1_sel:WORD_1
	v_fma_f16 v62, v62, v110, v63
	v_pack_b32_f16 v62, v64, v62
	ds_write2_b32 v56, v58, v62 offset0:72 offset1:177
	s_waitcnt lgkmcnt(1)
	v_lshrrev_b32_e32 v58, 16, v60
	v_mul_f16_sdwa v62, v58, v67 dst_sel:DWORD dst_unused:UNUSED_PAD src0_sel:DWORD src1_sel:WORD_1
	v_fma_f16 v62, v60, v67, -v62
	v_mul_f16_sdwa v60, v60, v67 dst_sel:DWORD dst_unused:UNUSED_PAD src0_sel:DWORD src1_sel:WORD_1
	v_fma_f16 v58, v58, v67, v60
	v_lshrrev_b32_e32 v60, 16, v61
	ds_read_b32 v63, v69 offset:5040
	v_pack_b32_f16 v58, v62, v58
	v_mul_f16_sdwa v62, v60, v108 dst_sel:DWORD dst_unused:UNUSED_PAD src0_sel:DWORD src1_sel:WORD_1
	v_fma_f16 v62, v61, v108, -v62
	v_mul_f16_sdwa v61, v61, v108 dst_sel:DWORD dst_unused:UNUSED_PAD src0_sel:DWORD src1_sel:WORD_1
	v_fma_f16 v60, v60, v108, v61
	v_pack_b32_f16 v60, v62, v60
	ds_write2_b32 v54, v58, v60 offset0:26 offset1:131
	s_waitcnt lgkmcnt(1)
	v_lshrrev_b32_e32 v58, 16, v63
	v_mul_f16_sdwa v60, v58, v109 dst_sel:DWORD dst_unused:UNUSED_PAD src0_sel:DWORD src1_sel:WORD_1
	v_mul_f16_sdwa v61, v63, v109 dst_sel:DWORD dst_unused:UNUSED_PAD src0_sel:DWORD src1_sel:WORD_1
	v_fma_f16 v60, v63, v109, -v60
	v_fma_f16 v58, v58, v109, v61
	v_pack_b32_f16 v58, v60, v58
	ds_write_b32 v69, v58 offset:5040
	s_and_saveexec_b64 s[4:5], s[0:1]
	s_cbranch_execz .LBB0_13
; %bb.12:
	global_load_dword v58, v[51:52], off offset:364
	global_load_dword v68, v[51:52], off offset:784
	;; [unrolled: 1-line block ×9, first 2 shown]
	v_add_co_u32_e64 v51, s[2:3], s12, v51
	v_addc_co_u32_e64 v52, s[2:3], 0, v52, s[2:3]
	global_load_dword v115, v[51:52], off offset:48
	global_load_dword v116, v[51:52], off offset:468
	;; [unrolled: 1-line block ×3, first 2 shown]
	v_add_u32_e32 v117, 0x400, v85
	ds_read2_b32 v[60:61], v85 offset0:91 offset1:196
	ds_read2_b32 v[62:63], v57 offset0:127 offset1:232
	v_add_u32_e32 v118, 0xa00, v85
	v_add_u32_e32 v120, 0xe00, v85
	ds_read2_b32 v[64:65], v117 offset0:45 offset1:150
	ds_read2_b32 v[66:67], v118 offset0:81 offset1:186
	;; [unrolled: 1-line block ×3, first 2 shown]
	global_load_dword v121, v[51:52], off offset:1308
	s_waitcnt lgkmcnt(4)
	v_lshrrev_b32_e32 v51, 16, v60
	v_lshrrev_b32_e32 v52, 16, v61
	s_waitcnt lgkmcnt(2)
	v_lshrrev_b32_e32 v124, 16, v64
	v_lshrrev_b32_e32 v122, 16, v62
	;; [unrolled: 1-line block ×4, first 2 shown]
	s_waitcnt lgkmcnt(1)
	v_lshrrev_b32_e32 v126, 16, v66
	v_lshrrev_b32_e32 v127, 16, v67
	s_waitcnt lgkmcnt(0)
	v_lshrrev_b32_e32 v129, 16, v107
	v_lshrrev_b32_e32 v128, 16, v106
	s_waitcnt vmcnt(12)
	v_mul_f16_sdwa v130, v51, v58 dst_sel:DWORD dst_unused:UNUSED_PAD src0_sel:DWORD src1_sel:WORD_1
	v_mul_f16_sdwa v131, v60, v58 dst_sel:DWORD dst_unused:UNUSED_PAD src0_sel:DWORD src1_sel:WORD_1
	s_waitcnt vmcnt(11)
	v_mul_f16_sdwa v132, v52, v68 dst_sel:DWORD dst_unused:UNUSED_PAD src0_sel:DWORD src1_sel:WORD_1
	v_mul_f16_sdwa v133, v61, v68 dst_sel:DWORD dst_unused:UNUSED_PAD src0_sel:DWORD src1_sel:WORD_1
	;; [unrolled: 3-line block ×8, first 2 shown]
	v_fma_f16 v60, v60, v58, -v130
	v_fma_f16 v51, v51, v58, v131
	v_fma_f16 v58, v61, v68, -v132
	v_fma_f16 v52, v52, v68, v133
	v_fma_f16 v61, v64, v108, -v134
	v_fma_f16 v64, v124, v108, v135
	v_fma_f16 v65, v65, v109, -v136
	v_fma_f16 v68, v125, v109, v137
	v_fma_f16 v62, v62, v110, -v138
	v_fma_f16 v108, v122, v110, v139
	v_fma_f16 v63, v63, v111, -v140
	v_fma_f16 v109, v123, v111, v141
	v_fma_f16 v66, v66, v112, -v142
	v_fma_f16 v110, v126, v112, v143
	v_fma_f16 v67, v67, v113, -v144
	v_fma_f16 v111, v127, v113, v145
	v_pack_b32_f16 v51, v60, v51
	v_pack_b32_f16 v52, v58, v52
	;; [unrolled: 1-line block ×8, first 2 shown]
	ds_write2_b32 v85, v51, v52 offset0:91 offset1:196
	ds_write2_b32 v117, v58, v60 offset0:45 offset1:150
	ds_write2_b32 v57, v61, v62 offset0:127 offset1:232
	ds_write2_b32 v118, v63, v64 offset0:81 offset1:186
	s_waitcnt vmcnt(3)
	v_mul_f16_sdwa v51, v129, v115 dst_sel:DWORD dst_unused:UNUSED_PAD src0_sel:DWORD src1_sel:WORD_1
	v_add_u32_e32 v58, 0x1000, v85
	v_fma_f16 v57, v107, v115, -v51
	ds_read2_b32 v[51:52], v58 offset0:117 offset1:222
	v_mul_f16_sdwa v146, v128, v114 dst_sel:DWORD dst_unused:UNUSED_PAD src0_sel:DWORD src1_sel:WORD_1
	v_mul_f16_sdwa v147, v106, v114 dst_sel:DWORD dst_unused:UNUSED_PAD src0_sel:DWORD src1_sel:WORD_1
	;; [unrolled: 1-line block ×3, first 2 shown]
	v_fma_f16 v106, v106, v114, -v146
	v_fma_f16 v112, v128, v114, v147
	v_fma_f16 v60, v129, v115, v60
	v_pack_b32_f16 v65, v106, v112
	v_pack_b32_f16 v57, v57, v60
	ds_write2_b32 v120, v65, v57 offset0:35 offset1:140
	s_waitcnt lgkmcnt(1)
	v_lshrrev_b32_e32 v57, 16, v51
	s_waitcnt vmcnt(2)
	v_mul_f16_sdwa v60, v57, v116 dst_sel:DWORD dst_unused:UNUSED_PAD src0_sel:DWORD src1_sel:WORD_1
	v_fma_f16 v60, v51, v116, -v60
	v_mul_f16_sdwa v51, v51, v116 dst_sel:DWORD dst_unused:UNUSED_PAD src0_sel:DWORD src1_sel:WORD_1
	v_fma_f16 v51, v57, v116, v51
	v_lshrrev_b32_e32 v57, 16, v52
	ds_read_b32 v61, v85 offset:5404
	v_pack_b32_f16 v51, v60, v51
	s_waitcnt vmcnt(1)
	v_mul_f16_sdwa v60, v57, v119 dst_sel:DWORD dst_unused:UNUSED_PAD src0_sel:DWORD src1_sel:WORD_1
	v_fma_f16 v60, v52, v119, -v60
	v_mul_f16_sdwa v52, v52, v119 dst_sel:DWORD dst_unused:UNUSED_PAD src0_sel:DWORD src1_sel:WORD_1
	v_fma_f16 v52, v57, v119, v52
	v_pack_b32_f16 v52, v60, v52
	ds_write2_b32 v58, v51, v52 offset0:117 offset1:222
	s_waitcnt lgkmcnt(1)
	v_lshrrev_b32_e32 v51, 16, v61
	s_waitcnt vmcnt(0)
	v_mul_f16_sdwa v52, v51, v121 dst_sel:DWORD dst_unused:UNUSED_PAD src0_sel:DWORD src1_sel:WORD_1
	v_mul_f16_sdwa v57, v61, v121 dst_sel:DWORD dst_unused:UNUSED_PAD src0_sel:DWORD src1_sel:WORD_1
	v_fma_f16 v52, v61, v121, -v52
	v_fma_f16 v51, v51, v121, v57
	v_pack_b32_f16 v51, v52, v51
	ds_write_b32 v85, v51 offset:5404
.LBB0_13:
	s_or_b64 exec, exec, s[4:5]
	s_waitcnt lgkmcnt(0)
	s_barrier
	ds_read2_b32 v[57:58], v69 offset1:105
	ds_read2_b32 v[65:66], v55 offset0:82 offset1:187
	ds_read2_b32 v[61:62], v59 offset0:36 offset1:141
	;; [unrolled: 1-line block ×5, first 2 shown]
	ds_read_b32 v186, v69 offset:5040
	s_and_saveexec_b64 s[2:3], s[0:1]
	s_cbranch_execz .LBB0_15
; %bb.14:
	v_add_u32_e32 v23, 0x400, v85
	ds_read2_b32 v[43:44], v23 offset0:45 offset1:150
	v_add_u32_e32 v23, 0xa00, v85
	ds_read2_b32 v[47:48], v23 offset0:81 offset1:186
	v_add_u32_e32 v23, 0xe00, v85
	v_add_u32_e32 v24, 0x600, v85
	ds_read2_b32 v[25:26], v23 offset0:35 offset1:140
	v_add_u32_e32 v23, 0x1000, v85
	ds_read2_b32 v[49:50], v85 offset0:91 offset1:196
	ds_read2_b32 v[45:46], v24 offset0:127 offset1:232
	;; [unrolled: 1-line block ×3, first 2 shown]
	ds_read_b32 v92, v85 offset:5404
	s_waitcnt lgkmcnt(6)
	v_lshrrev_b32_e32 v98, 16, v43
	s_waitcnt lgkmcnt(3)
	v_lshrrev_b32_e32 v104, 16, v49
	v_lshrrev_b32_e32 v105, 16, v50
	;; [unrolled: 1-line block ×3, first 2 shown]
	s_waitcnt lgkmcnt(2)
	v_lshrrev_b32_e32 v100, 16, v45
	v_lshrrev_b32_e32 v101, 16, v46
	;; [unrolled: 1-line block ×6, first 2 shown]
	s_waitcnt lgkmcnt(1)
	v_lshrrev_b32_e32 v90, 16, v23
	v_lshrrev_b32_e32 v89, 16, v24
	s_waitcnt lgkmcnt(0)
	v_lshrrev_b32_e32 v88, 16, v92
.LBB0_15:
	s_or_b64 exec, exec, s[2:3]
	v_add_f16_e32 v143, v88, v105
	v_sub_f16_e32 v51, v50, v92
	v_sub_f16_e32 v52, v105, v88
	v_mul_f16_e32 v113, 0xbbc4, v143
	s_movk_i32 s23, 0x33a8
	v_add_f16_e32 v142, v92, v50
	s_movk_i32 s4, 0x3b15
	v_mul_f16_e32 v114, 0xb770, v52
	v_fma_f16 v118, v51, s23, v113
	v_sub_f16_e32 v128, v98, v89
	v_fma_f16 v53, v142, s4, v114
	s_movk_i32 s3, 0x388b
	s_mov_b32 s16, 0xb3a8
	v_add_f16_e32 v125, v104, v118
	v_add_f16_e32 v154, v24, v43
	v_mul_f16_e32 v118, 0xba95, v128
	v_add_f16_e32 v53, v49, v53
	v_mul_f16_e32 v115, 0xb770, v51
	v_mul_f16_e32 v117, 0xba95, v51
	;; [unrolled: 1-line block ×5, first 2 shown]
	v_fma_f16 v51, v51, s16, v113
	v_sub_f16_e32 v113, v43, v24
	v_fma_f16 v120, v154, s3, v118
	v_fma_f16 v54, v143, s4, -v115
	v_add_f16_e32 v155, v89, v98
	v_add_f16_e32 v53, v120, v53
	v_mul_f16_e32 v120, 0xba95, v113
	v_add_f16_e32 v54, v104, v54
	v_mul_f16_e32 v116, 0xba95, v52
	v_fma_f16 v122, v155, s3, -v120
	v_fma_f16 v55, v142, s3, v116
	s_mov_b32 s12, 0xb5ac
	v_add_f16_e32 v54, v122, v54
	v_mul_f16_e32 v122, 0xbb7b, v128
	v_add_f16_e32 v55, v49, v55
	v_fma_f16 v124, v154, s12, v122
	v_fma_f16 v56, v143, s3, -v117
	v_add_f16_e32 v55, v124, v55
	v_mul_f16_e32 v124, 0xbb7b, v113
	v_add_f16_e32 v56, v104, v56
	s_movk_i32 s2, 0x2fb7
	v_mul_f16_e32 v119, 0xbbf1, v52
	v_fma_f16 v127, v155, s12, -v124
	v_fma_f16 v106, v142, s2, v119
	s_mov_b32 s17, 0xbbc4
	v_add_f16_e32 v56, v127, v56
	v_mul_f16_e32 v127, 0xb3a8, v128
	v_add_f16_e32 v106, v49, v106
	v_fma_f16 v130, v154, s17, v127
	v_fma_f16 v107, v143, s2, -v121
	v_mul_f16_e32 v123, 0xbb7b, v52
	v_add_f16_e32 v106, v130, v106
	v_mul_f16_e32 v130, 0xb3a8, v113
	v_add_f16_e32 v107, v104, v107
	v_fma_f16 v108, v142, s12, v123
	s_mov_b32 s14, 0xb9fd
	v_fma_f16 v131, v155, s17, -v130
	v_mul_f16_e32 v135, 0x394e, v128
	v_add_f16_e32 v108, v49, v108
	v_fma_f16 v109, v143, s12, -v126
	v_mul_f16_e32 v129, 0xb94e, v52
	v_add_f16_e32 v107, v131, v107
	v_fma_f16 v131, v154, s14, v135
	v_mul_f16_e32 v137, 0x394e, v113
	v_add_f16_e32 v109, v104, v109
	v_fma_f16 v110, v142, s14, v129
	v_add_f16_e32 v108, v131, v108
	v_fma_f16 v131, v155, s14, -v137
	v_mul_f16_e32 v141, 0x3bf1, v128
	v_add_f16_e32 v110, v49, v110
	v_fma_f16 v111, v143, s14, -v133
	v_mul_f16_e32 v52, 0xb3a8, v52
	v_add_f16_e32 v109, v131, v109
	v_fma_f16 v131, v154, s2, v141
	v_mul_f16_e32 v147, 0x3bf1, v113
	v_add_f16_e32 v111, v104, v111
	v_fma_f16 v112, v142, s17, v52
	v_add_f16_e32 v110, v131, v110
	v_fma_f16 v131, v155, s2, -v147
	v_mul_f16_e32 v128, 0x3770, v128
	v_add_f16_e32 v112, v49, v112
	v_add_f16_e32 v111, v131, v111
	v_fma_f16 v131, v154, s4, v128
	s_mov_b32 s19, 0xb770
	v_add_f16_e32 v112, v131, v112
	v_mul_f16_e32 v131, 0x3b15, v155
	v_fma_f16 v52, v142, s17, -v52
	v_fma_f16 v132, v113, s19, v131
	v_add_f16_e32 v52, v49, v52
	s_movk_i32 s20, 0x3770
	v_add_f16_e32 v132, v132, v125
	v_fma_f16 v125, v154, s4, -v128
	v_sub_f16_e32 v136, v99, v90
	v_add_f16_e32 v51, v104, v51
	v_add_f16_e32 v52, v125, v52
	v_fma_f16 v113, v113, s20, v131
	v_add_f16_e32 v166, v23, v44
	v_mul_f16_e32 v125, 0xbbf1, v136
	v_add_f16_e32 v51, v113, v51
	v_sub_f16_e32 v113, v44, v23
	v_fma_f16 v128, v166, s2, v125
	v_add_f16_e32 v167, v90, v99
	v_add_f16_e32 v53, v128, v53
	v_mul_f16_e32 v128, 0xbbf1, v113
	v_fma_f16 v131, v167, s2, -v128
	v_add_f16_e32 v54, v131, v54
	v_mul_f16_e32 v131, 0xb3a8, v136
	v_fma_f16 v134, v166, s17, v131
	v_add_f16_e32 v55, v134, v55
	v_mul_f16_e32 v134, 0xb3a8, v113
	v_fma_f16 v138, v167, s17, -v134
	v_add_f16_e32 v56, v138, v56
	v_mul_f16_e32 v138, 0x3b7b, v136
	v_fma_f16 v139, v166, s12, v138
	v_mul_f16_e32 v140, 0x3b7b, v113
	v_add_f16_e32 v106, v139, v106
	v_fma_f16 v139, v167, s12, -v140
	v_mul_f16_e32 v146, 0x3770, v136
	v_add_f16_e32 v107, v139, v107
	v_fma_f16 v139, v166, s4, v146
	v_mul_f16_e32 v150, 0x3770, v113
	v_add_f16_e32 v108, v139, v108
	v_fma_f16 v139, v167, s4, -v150
	v_mul_f16_e32 v153, 0xba95, v136
	v_add_f16_e32 v109, v139, v109
	;; [unrolled: 6-line block ×3, first 2 shown]
	v_fma_f16 v139, v166, s14, v136
	s_movk_i32 s22, 0x394e
	v_add_f16_e32 v112, v139, v112
	v_mul_f16_e32 v139, 0xb9fd, v167
	v_fma_f16 v144, v113, s22, v139
	s_mov_b32 s13, 0xb94e
	v_add_f16_e32 v144, v144, v132
	v_fma_f16 v132, v166, s14, -v136
	v_sub_f16_e32 v148, v100, v91
	v_add_f16_e32 v52, v132, v52
	v_fma_f16 v113, v113, s13, v139
	v_add_f16_e32 v173, v26, v45
	v_mul_f16_e32 v132, 0xbb7b, v148
	v_add_f16_e32 v51, v113, v51
	v_sub_f16_e32 v113, v45, v26
	v_fma_f16 v136, v173, s12, v132
	v_add_f16_e32 v174, v91, v100
	v_add_f16_e32 v53, v136, v53
	v_mul_f16_e32 v136, 0xbb7b, v113
	v_fma_f16 v139, v174, s12, -v136
	v_add_f16_e32 v54, v139, v54
	v_mul_f16_e32 v139, 0x394e, v148
	v_fma_f16 v145, v173, s14, v139
	v_add_f16_e32 v55, v145, v55
	v_mul_f16_e32 v145, 0x394e, v113
	v_fma_f16 v149, v174, s14, -v145
	v_add_f16_e32 v56, v149, v56
	v_mul_f16_e32 v149, 0x3770, v148
	v_fma_f16 v151, v173, s4, v149
	v_mul_f16_e32 v152, 0x3770, v113
	v_add_f16_e32 v106, v151, v106
	v_fma_f16 v151, v174, s4, -v152
	v_mul_f16_e32 v158, 0xbbf1, v148
	v_add_f16_e32 v107, v151, v107
	v_fma_f16 v151, v173, s2, v158
	v_mul_f16_e32 v162, 0xbbf1, v113
	v_add_f16_e32 v108, v151, v108
	v_fma_f16 v151, v174, s2, -v162
	v_mul_f16_e32 v165, 0x33a8, v148
	v_add_f16_e32 v109, v151, v109
	;; [unrolled: 6-line block ×3, first 2 shown]
	v_fma_f16 v151, v173, s3, v148
	s_mov_b32 s15, 0xba95
	v_add_f16_e32 v112, v151, v112
	v_mul_f16_e32 v151, 0x388b, v174
	v_fma_f16 v156, v113, s15, v151
	v_add_f16_e32 v156, v156, v144
	v_fma_f16 v144, v173, s3, -v148
	v_sub_f16_e32 v160, v101, v93
	v_add_f16_e32 v52, v144, v52
	v_fma_f16 v113, v113, s25, v151
	v_add_f16_e32 v180, v25, v46
	v_mul_f16_e32 v144, 0xb94e, v160
	v_add_f16_e32 v51, v113, v51
	v_sub_f16_e32 v113, v46, v25
	v_fma_f16 v148, v180, s14, v144
	v_add_f16_e32 v181, v93, v101
	v_add_f16_e32 v53, v148, v53
	v_mul_f16_e32 v148, 0xb94e, v113
	v_fma_f16 v151, v181, s14, -v148
	v_add_f16_e32 v54, v151, v54
	v_mul_f16_e32 v151, 0x3bf1, v160
	v_fma_f16 v157, v180, s2, v151
	v_add_f16_e32 v55, v157, v55
	v_mul_f16_e32 v157, 0x3bf1, v113
	v_fma_f16 v161, v181, s2, -v157
	v_add_f16_e32 v56, v161, v56
	v_mul_f16_e32 v161, 0xba95, v160
	v_fma_f16 v163, v180, s3, v161
	v_mul_f16_e32 v164, 0xba95, v113
	v_add_f16_e32 v175, v163, v106
	v_fma_f16 v106, v181, s3, -v164
	v_mul_f16_e32 v169, 0x33a8, v160
	v_add_f16_e32 v177, v106, v107
	v_fma_f16 v106, v180, s17, v169
	v_mul_f16_e32 v172, 0x33a8, v113
	v_add_f16_e32 v179, v106, v108
	v_fma_f16 v106, v181, s17, -v172
	v_mul_f16_e32 v176, 0x3770, v160
	v_add_f16_e32 v109, v106, v109
	v_fma_f16 v106, v180, s4, v176
	v_mul_f16_e32 v178, 0x3770, v113
	v_add_f16_e32 v110, v106, v110
	v_fma_f16 v106, v181, s4, -v178
	v_add_f16_e32 v111, v106, v111
	v_mul_f16_e32 v106, 0xbb7b, v160
	v_fma_f16 v107, v180, s12, v106
	s_movk_i32 s24, 0x3b7b
	v_add_f16_e32 v112, v107, v112
	v_mul_f16_e32 v107, 0xb5ac, v181
	s_mov_b32 s5, 0xbb7b
	v_fma_f16 v108, v113, s24, v107
	v_fma_f16 v106, v180, s12, -v106
	v_sub_f16_e32 v191, v102, v103
	v_add_f16_e32 v188, v108, v156
	v_add_f16_e32 v189, v106, v52
	v_fma_f16 v52, v113, s5, v107
	v_add_f16_e32 v184, v48, v47
	v_sub_f16_e32 v190, v47, v48
	v_mul_f16_e32 v156, 0xb3a8, v191
	v_add_f16_e32 v113, v52, v51
	v_add_f16_e32 v185, v103, v102
	v_fma_f16 v51, v184, s17, v156
	v_mul_f16_e32 v168, 0x3770, v190
	v_add_f16_e32 v51, v51, v53
	v_fma_f16 v53, v185, s4, -v168
	v_mul_f16_e32 v171, 0xb94e, v191
	s_waitcnt lgkmcnt(6)
	v_pk_add_f16 v187, v57, v58
	v_mul_f16_e32 v160, 0xb3a8, v190
	v_add_f16_e32 v107, v53, v56
	v_fma_f16 v53, v184, s14, v171
	v_fma_f16 v52, v185, s17, -v160
	v_add_f16_e32 v53, v53, v175
	v_mul_f16_e32 v175, 0xb94e, v190
	s_waitcnt lgkmcnt(5)
	v_pk_add_f16 v187, v187, v65
	v_add_f16_e32 v106, v52, v54
	v_fma_f16 v54, v185, s14, -v175
	v_pk_add_f16 v187, v187, v66
	v_add_f16_e32 v108, v54, v177
	v_mul_f16_e32 v177, 0x3a95, v191
	s_waitcnt lgkmcnt(4)
	v_pk_add_f16 v187, v187, v61
	v_mul_f16_e32 v163, 0x3770, v191
	v_fma_f16 v54, v184, s3, v177
	v_pk_add_f16 v187, v187, v62
	v_fma_f16 v52, v184, s4, v163
	v_add_f16_e32 v54, v54, v179
	v_mul_f16_e32 v179, 0x3a95, v190
	s_waitcnt lgkmcnt(3)
	v_pk_add_f16 v187, v187, v59
	v_add_f16_e32 v52, v52, v55
	v_fma_f16 v55, v185, s3, -v179
	v_mul_f16_e32 v182, 0xbb7b, v191
	v_mul_f16_e32 v183, 0xbb7b, v190
	v_pk_add_f16 v187, v187, v60
	s_mov_b32 s21, 0xbbf1
	v_add_f16_e32 v109, v55, v109
	v_fma_f16 v55, v184, s12, v182
	v_fma_f16 v56, v185, s12, -v183
	v_mul_f16_e32 v192, 0x2fb7, v185
	s_waitcnt lgkmcnt(2)
	v_pk_add_f16 v187, v187, v63
	s_movk_i32 s18, 0x3bf1
	v_add_f16_e32 v55, v55, v110
	v_add_f16_e32 v110, v56, v111
	v_fma_f16 v111, v190, s21, v192
	v_pk_add_f16 v187, v187, v64
	v_mul_f16_e32 v191, 0x3bf1, v191
	v_add_f16_e32 v111, v111, v188
	v_fma_f16 v188, v190, s18, v192
	s_waitcnt lgkmcnt(1)
	v_pk_add_f16 v187, v187, v67
	v_fma_f16 v56, v184, s2, v191
	v_add_f16_e32 v113, v188, v113
	v_pk_add_f16 v187, v187, v68
	s_waitcnt lgkmcnt(0)
	v_pk_add_f16 v188, v186, v58
	v_pk_add_f16 v58, v58, v186 neg_lo:[0,1] neg_hi:[0,1]
	v_add_f16_e32 v56, v56, v112
	v_fma_f16 v112, v184, s2, -v191
	v_pk_add_f16 v187, v187, v186
	v_pk_mul_f16 v186, v58, s19 op_sel_hi:[1,0]
	v_pk_add_f16 v207, v68, v65
	v_pk_add_f16 v65, v65, v68 neg_lo:[0,1] neg_hi:[0,1]
	v_add_f16_e32 v112, v112, v189
	v_pk_fma_f16 v189, v188, s4, v186 op_sel:[0,0,1] op_sel_hi:[1,0,0]
	v_pk_fma_f16 v186, v188, s4, v186 op_sel:[0,0,1] op_sel_hi:[1,0,0] neg_lo:[0,0,1] neg_hi:[0,0,1]
	s_mov_b32 s26, 0xffff
	v_pk_mul_f16 v68, v65, s15 op_sel_hi:[1,0]
	v_bfi_b32 v190, s26, v189, v186
	v_pk_fma_f16 v208, v207, s3, v68 op_sel:[0,0,1] op_sel_hi:[1,0,0]
	v_pk_fma_f16 v68, v207, s3, v68 op_sel:[0,0,1] op_sel_hi:[1,0,0] neg_lo:[0,0,1] neg_hi:[0,0,1]
	v_pk_add_f16 v190, v57, v190
	v_mul_f16_sdwa v191, v58, s15 dst_sel:DWORD dst_unused:UNUSED_PAD src0_sel:WORD_1 src1_sel:DWORD
	v_bfi_b32 v209, s26, v208, v68
	v_fma_f16 v192, v188, s3, v191
	v_pk_add_f16 v190, v209, v190
	v_mul_f16_sdwa v209, v65, s5 dst_sel:DWORD dst_unused:UNUSED_PAD src0_sel:WORD_1 src1_sel:DWORD
	v_add_f16_e32 v192, v57, v192
	v_mul_f16_sdwa v193, v188, s3 dst_sel:DWORD dst_unused:UNUSED_PAD src0_sel:WORD_1 src1_sel:DWORD
	v_fma_f16 v191, v188, s3, -v191
	v_fma_f16 v210, v207, s12, v209
	v_fma_f16 v194, v58, s25, v193
	v_add_f16_e32 v191, v57, v191
	v_fma_f16 v193, v58, s15, v193
	v_add_f16_e32 v192, v210, v192
	v_mul_f16_sdwa v210, v207, s12 dst_sel:DWORD dst_unused:UNUSED_PAD src0_sel:WORD_1 src1_sel:DWORD
	v_fma_f16 v209, v207, s12, -v209
	v_add_f16_sdwa v193, v57, v193 dst_sel:DWORD dst_unused:UNUSED_PAD src0_sel:WORD_1 src1_sel:DWORD
	v_mul_f16_sdwa v195, v58, s21 dst_sel:DWORD dst_unused:UNUSED_PAD src0_sel:WORD_1 src1_sel:DWORD
	v_add_f16_e32 v191, v209, v191
	v_fma_f16 v209, v65, s5, v210
	v_fma_f16 v196, v188, s2, v195
	v_add_f16_e32 v193, v209, v193
	v_mul_f16_sdwa v209, v65, s16 dst_sel:DWORD dst_unused:UNUSED_PAD src0_sel:WORD_1 src1_sel:DWORD
	v_add_f16_e32 v196, v57, v196
	v_mul_f16_sdwa v197, v188, s2 dst_sel:DWORD dst_unused:UNUSED_PAD src0_sel:WORD_1 src1_sel:DWORD
	v_fma_f16 v195, v188, s2, -v195
	v_fma_f16 v211, v65, s24, v210
	v_fma_f16 v210, v207, s17, v209
	;; [unrolled: 1-line block ×3, first 2 shown]
	v_add_f16_e32 v195, v57, v195
	v_fma_f16 v197, v58, s21, v197
	v_add_f16_e32 v196, v210, v196
	v_mul_f16_sdwa v210, v207, s17 dst_sel:DWORD dst_unused:UNUSED_PAD src0_sel:WORD_1 src1_sel:DWORD
	v_fma_f16 v209, v207, s17, -v209
	v_add_f16_sdwa v197, v57, v197 dst_sel:DWORD dst_unused:UNUSED_PAD src0_sel:WORD_1 src1_sel:DWORD
	v_mul_f16_sdwa v199, v58, s5 dst_sel:DWORD dst_unused:UNUSED_PAD src0_sel:WORD_1 src1_sel:DWORD
	v_add_f16_e32 v195, v209, v195
	v_fma_f16 v209, v65, s16, v210
	v_add_f16_sdwa v194, v57, v194 dst_sel:DWORD dst_unused:UNUSED_PAD src0_sel:WORD_1 src1_sel:DWORD
	v_fma_f16 v200, v188, s12, v199
	v_add_f16_e32 v197, v209, v197
	v_mul_f16_sdwa v209, v65, s22 dst_sel:DWORD dst_unused:UNUSED_PAD src0_sel:WORD_1 src1_sel:DWORD
	v_add_f16_e32 v200, v57, v200
	v_mul_f16_sdwa v201, v188, s12 dst_sel:DWORD dst_unused:UNUSED_PAD src0_sel:WORD_1 src1_sel:DWORD
	v_fma_f16 v199, v188, s12, -v199
	v_add_f16_e32 v194, v211, v194
	v_fma_f16 v211, v65, s23, v210
	v_fma_f16 v210, v207, s14, v209
	;; [unrolled: 1-line block ×3, first 2 shown]
	v_add_f16_e32 v199, v57, v199
	v_fma_f16 v201, v58, s5, v201
	v_add_f16_e32 v200, v210, v200
	v_mul_f16_sdwa v210, v207, s14 dst_sel:DWORD dst_unused:UNUSED_PAD src0_sel:WORD_1 src1_sel:DWORD
	v_fma_f16 v209, v207, s14, -v209
	v_add_f16_sdwa v201, v57, v201 dst_sel:DWORD dst_unused:UNUSED_PAD src0_sel:WORD_1 src1_sel:DWORD
	v_mul_f16_sdwa v203, v58, s13 dst_sel:DWORD dst_unused:UNUSED_PAD src0_sel:WORD_1 src1_sel:DWORD
	v_add_f16_e32 v199, v209, v199
	v_fma_f16 v209, v65, s22, v210
	v_add_f16_sdwa v198, v57, v198 dst_sel:DWORD dst_unused:UNUSED_PAD src0_sel:WORD_1 src1_sel:DWORD
	v_fma_f16 v204, v188, s14, v203
	v_add_f16_e32 v201, v209, v201
	v_mul_f16_sdwa v209, v65, s18 dst_sel:DWORD dst_unused:UNUSED_PAD src0_sel:WORD_1 src1_sel:DWORD
	v_add_f16_e32 v204, v57, v204
	v_mul_f16_sdwa v205, v188, s14 dst_sel:DWORD dst_unused:UNUSED_PAD src0_sel:WORD_1 src1_sel:DWORD
	v_fma_f16 v203, v188, s14, -v203
	v_add_f16_e32 v198, v211, v198
	v_fma_f16 v211, v65, s13, v210
	v_fma_f16 v210, v207, s2, v209
	;; [unrolled: 1-line block ×3, first 2 shown]
	v_add_f16_e32 v203, v57, v203
	v_fma_f16 v205, v58, s13, v205
	v_add_f16_e32 v204, v210, v204
	v_mul_f16_sdwa v210, v207, s2 dst_sel:DWORD dst_unused:UNUSED_PAD src0_sel:WORD_1 src1_sel:DWORD
	v_fma_f16 v209, v207, s2, -v209
	v_add_f16_sdwa v205, v57, v205 dst_sel:DWORD dst_unused:UNUSED_PAD src0_sel:WORD_1 src1_sel:DWORD
	v_add_f16_e32 v203, v209, v203
	v_fma_f16 v209, v65, s18, v210
	v_add_f16_e32 v205, v209, v205
	v_pk_add_f16 v209, v67, v66
	v_pk_add_f16 v66, v66, v67 neg_lo:[0,1] neg_hi:[0,1]
	v_add_f16_sdwa v202, v57, v202 dst_sel:DWORD dst_unused:UNUSED_PAD src0_sel:WORD_1 src1_sel:DWORD
	v_pk_mul_f16 v67, v66, s21 op_sel_hi:[1,0]
	v_add_f16_sdwa v206, v57, v206 dst_sel:DWORD dst_unused:UNUSED_PAD src0_sel:WORD_1 src1_sel:DWORD
	v_add_f16_e32 v202, v211, v202
	v_fma_f16 v211, v65, s21, v210
	v_pk_fma_f16 v210, v209, s2, v67 op_sel:[0,0,1] op_sel_hi:[1,0,0]
	v_pk_fma_f16 v67, v209, s2, v67 op_sel:[0,0,1] op_sel_hi:[1,0,0] neg_lo:[0,0,1] neg_hi:[0,0,1]
	v_add_f16_e32 v206, v211, v206
	v_bfi_b32 v211, s26, v210, v67
	v_pk_add_f16 v190, v211, v190
	v_mul_f16_sdwa v211, v66, s16 dst_sel:DWORD dst_unused:UNUSED_PAD src0_sel:WORD_1 src1_sel:DWORD
	v_fma_f16 v212, v209, s17, v211
	v_add_f16_e32 v192, v212, v192
	v_mul_f16_sdwa v212, v209, s17 dst_sel:DWORD dst_unused:UNUSED_PAD src0_sel:WORD_1 src1_sel:DWORD
	v_fma_f16 v211, v209, s17, -v211
	v_add_f16_e32 v191, v211, v191
	v_fma_f16 v211, v66, s16, v212
	v_add_f16_e32 v193, v211, v193
	v_mul_f16_sdwa v211, v66, s24 dst_sel:DWORD dst_unused:UNUSED_PAD src0_sel:WORD_1 src1_sel:DWORD
	v_fma_f16 v213, v66, s23, v212
	v_fma_f16 v212, v209, s12, v211
	v_add_f16_e32 v196, v212, v196
	v_mul_f16_sdwa v212, v209, s12 dst_sel:DWORD dst_unused:UNUSED_PAD src0_sel:WORD_1 src1_sel:DWORD
	v_fma_f16 v211, v209, s12, -v211
	v_add_f16_e32 v195, v211, v195
	v_fma_f16 v211, v66, s24, v212
	v_add_f16_e32 v197, v211, v197
	v_mul_f16_sdwa v211, v66, s20 dst_sel:DWORD dst_unused:UNUSED_PAD src0_sel:WORD_1 src1_sel:DWORD
	v_add_f16_e32 v194, v213, v194
	v_fma_f16 v213, v66, s5, v212
	v_fma_f16 v212, v209, s4, v211
	v_add_f16_e32 v200, v212, v200
	v_mul_f16_sdwa v212, v209, s4 dst_sel:DWORD dst_unused:UNUSED_PAD src0_sel:WORD_1 src1_sel:DWORD
	v_fma_f16 v211, v209, s4, -v211
	v_add_f16_e32 v199, v211, v199
	v_fma_f16 v211, v66, s20, v212
	v_add_f16_e32 v201, v211, v201
	v_mul_f16_sdwa v211, v66, s15 dst_sel:DWORD dst_unused:UNUSED_PAD src0_sel:WORD_1 src1_sel:DWORD
	v_add_f16_e32 v198, v213, v198
	v_fma_f16 v213, v66, s19, v212
	v_fma_f16 v212, v209, s3, v211
	v_add_f16_e32 v204, v212, v204
	v_mul_f16_sdwa v212, v209, s3 dst_sel:DWORD dst_unused:UNUSED_PAD src0_sel:WORD_1 src1_sel:DWORD
	v_fma_f16 v211, v209, s3, -v211
	v_add_f16_e32 v203, v211, v203
	v_fma_f16 v211, v66, s15, v212
	v_add_f16_e32 v205, v211, v205
	v_pk_add_f16 v211, v64, v61
	v_pk_add_f16 v61, v61, v64 neg_lo:[0,1] neg_hi:[0,1]
	v_pk_mul_f16 v64, v61, s5 op_sel_hi:[1,0]
	v_add_f16_e32 v202, v213, v202
	v_fma_f16 v213, v66, s25, v212
	v_pk_fma_f16 v212, v211, s12, v64 op_sel:[0,0,1] op_sel_hi:[1,0,0]
	v_pk_fma_f16 v64, v211, s12, v64 op_sel:[0,0,1] op_sel_hi:[1,0,0] neg_lo:[0,0,1] neg_hi:[0,0,1]
	v_add_f16_e32 v206, v213, v206
	v_bfi_b32 v213, s26, v212, v64
	v_pk_add_f16 v190, v213, v190
	v_mul_f16_sdwa v213, v61, s22 dst_sel:DWORD dst_unused:UNUSED_PAD src0_sel:WORD_1 src1_sel:DWORD
	v_fma_f16 v214, v211, s14, v213
	v_add_f16_e32 v192, v214, v192
	v_mul_f16_sdwa v214, v211, s14 dst_sel:DWORD dst_unused:UNUSED_PAD src0_sel:WORD_1 src1_sel:DWORD
	v_fma_f16 v213, v211, s14, -v213
	v_add_f16_e32 v191, v213, v191
	v_fma_f16 v213, v61, s22, v214
	v_add_f16_e32 v193, v213, v193
	v_mul_f16_sdwa v213, v61, s20 dst_sel:DWORD dst_unused:UNUSED_PAD src0_sel:WORD_1 src1_sel:DWORD
	v_fma_f16 v215, v61, s13, v214
	v_fma_f16 v214, v211, s4, v213
	v_add_f16_e32 v196, v214, v196
	v_mul_f16_sdwa v214, v211, s4 dst_sel:DWORD dst_unused:UNUSED_PAD src0_sel:WORD_1 src1_sel:DWORD
	v_fma_f16 v213, v211, s4, -v213
	v_add_f16_e32 v195, v213, v195
	v_fma_f16 v213, v61, s20, v214
	v_add_f16_e32 v197, v213, v197
	v_mul_f16_sdwa v213, v61, s21 dst_sel:DWORD dst_unused:UNUSED_PAD src0_sel:WORD_1 src1_sel:DWORD
	v_add_f16_e32 v194, v215, v194
	v_fma_f16 v215, v61, s19, v214
	v_fma_f16 v214, v211, s2, v213
	v_add_f16_e32 v200, v214, v200
	v_mul_f16_sdwa v214, v211, s2 dst_sel:DWORD dst_unused:UNUSED_PAD src0_sel:WORD_1 src1_sel:DWORD
	v_fma_f16 v213, v211, s2, -v213
	v_add_f16_e32 v199, v213, v199
	v_fma_f16 v213, v61, s21, v214
	v_add_f16_e32 v201, v213, v201
	v_mul_f16_sdwa v213, v61, s23 dst_sel:DWORD dst_unused:UNUSED_PAD src0_sel:WORD_1 src1_sel:DWORD
	v_add_f16_e32 v198, v215, v198
	v_fma_f16 v215, v61, s18, v214
	v_fma_f16 v214, v211, s17, v213
	v_add_f16_e32 v204, v214, v204
	v_mul_f16_sdwa v214, v211, s17 dst_sel:DWORD dst_unused:UNUSED_PAD src0_sel:WORD_1 src1_sel:DWORD
	v_fma_f16 v213, v211, s17, -v213
	v_add_f16_e32 v203, v213, v203
	v_fma_f16 v213, v61, s23, v214
	v_add_f16_e32 v205, v213, v205
	v_pk_add_f16 v213, v63, v62
	v_pk_add_f16 v62, v62, v63 neg_lo:[0,1] neg_hi:[0,1]
	v_pk_mul_f16 v63, v62, s13 op_sel_hi:[1,0]
	;; [unrolled: 47-line block ×3, first 2 shown]
	v_add_f16_e32 v202, v217, v202
	v_fma_f16 v217, v62, s19, v216
	v_pk_fma_f16 v216, v215, s17, v60 op_sel:[0,0,1] op_sel_hi:[1,0,0]
	v_pk_fma_f16 v60, v215, s17, v60 op_sel:[0,0,1] op_sel_hi:[1,0,0] neg_lo:[0,0,1] neg_hi:[0,0,1]
	v_add_f16_e32 v206, v217, v206
	v_bfi_b32 v217, s26, v216, v60
	v_pk_add_f16 v190, v217, v190
	v_mul_f16_sdwa v217, v59, s20 dst_sel:DWORD dst_unused:UNUSED_PAD src0_sel:WORD_1 src1_sel:DWORD
	v_fma_f16 v218, v215, s4, v217
	v_add_f16_e32 v192, v218, v192
	v_mul_f16_sdwa v218, v215, s4 dst_sel:DWORD dst_unused:UNUSED_PAD src0_sel:WORD_1 src1_sel:DWORD
	v_fma_f16 v217, v215, s4, -v217
	v_add_f16_e32 v191, v217, v191
	v_fma_f16 v217, v59, s20, v218
	v_add_f16_e32 v193, v217, v193
	v_mul_f16_sdwa v217, v59, s13 dst_sel:DWORD dst_unused:UNUSED_PAD src0_sel:WORD_1 src1_sel:DWORD
	v_fma_f16 v219, v59, s19, v218
	v_fma_f16 v218, v215, s14, v217
	v_add_f16_e32 v196, v218, v196
	v_mul_f16_sdwa v218, v215, s14 dst_sel:DWORD dst_unused:UNUSED_PAD src0_sel:WORD_1 src1_sel:DWORD
	v_fma_f16 v217, v215, s14, -v217
	v_add_f16_e32 v195, v217, v195
	v_fma_f16 v217, v59, s13, v218
	v_add_f16_e32 v197, v217, v197
	v_mul_f16_sdwa v217, v59, s25 dst_sel:DWORD dst_unused:UNUSED_PAD src0_sel:WORD_1 src1_sel:DWORD
	v_add_f16_e32 v194, v219, v194
	v_fma_f16 v219, v59, s22, v218
	v_fma_f16 v218, v215, s3, v217
	v_add_f16_e32 v200, v218, v200
	v_mul_f16_sdwa v218, v215, s3 dst_sel:DWORD dst_unused:UNUSED_PAD src0_sel:WORD_1 src1_sel:DWORD
	v_fma_f16 v217, v215, s3, -v217
	v_add_f16_e32 v199, v217, v199
	v_fma_f16 v217, v59, s25, v218
	v_add_f16_e32 v201, v217, v201
	v_mul_f16_sdwa v217, v59, s5 dst_sel:DWORD dst_unused:UNUSED_PAD src0_sel:WORD_1 src1_sel:DWORD
	v_add_f16_e32 v198, v219, v198
	v_fma_f16 v219, v59, s15, v218
	v_fma_f16 v218, v215, s12, v217
	v_add_f16_e32 v204, v218, v204
	v_mul_f16_sdwa v218, v215, s12 dst_sel:DWORD dst_unused:UNUSED_PAD src0_sel:WORD_1 src1_sel:DWORD
	v_add_f16_e32 v202, v219, v202
	v_fma_f16 v219, v59, s24, v218
	s_barrier
	v_add_f16_e32 v206, v219, v206
	ds_write2_b32 v86, v187, v190 offset1:1
	v_pack_b32_f16 v187, v196, v198
	v_pack_b32_f16 v190, v192, v194
	ds_write2_b32 v86, v190, v187 offset0:2 offset1:3
	v_pack_b32_f16 v187, v204, v206
	v_pack_b32_f16 v190, v200, v202
	ds_write2_b32 v86, v190, v187 offset0:4 offset1:5
	v_pk_mul_f16 v187, v188, s17 op_sel_hi:[1,0]
	v_pk_fma_f16 v188, v58, s16, v187 op_sel:[0,0,1] op_sel_hi:[1,0,0]
	v_pk_fma_f16 v58, v58, s16, v187 op_sel:[0,0,1] op_sel_hi:[1,0,0] neg_lo:[1,0,0] neg_hi:[1,0,0]
	v_alignbit_b32 v187, s0, v57, 16
	v_alignbit_b32 v190, s0, v188, 16
	v_pk_add_f16 v187, v187, v188
	v_pk_mul_f16 v188, v207, s4 op_sel_hi:[1,0]
	v_pk_add_f16 v58, v57, v58 op_sel:[1,0] op_sel_hi:[0,1]
	v_pk_fma_f16 v192, v65, s20, v188 op_sel:[0,0,1] op_sel_hi:[1,0,0]
	v_pk_fma_f16 v65, v65, s20, v188 op_sel:[0,0,1] op_sel_hi:[1,0,0] neg_lo:[1,0,0] neg_hi:[1,0,0]
	v_pk_add_f16 v58, v65, v58
	v_pk_add_f16 v65, v192, v187
	v_pk_mul_f16 v187, v209, s14 op_sel_hi:[1,0]
	v_pk_fma_f16 v188, v66, s13, v187 op_sel:[0,0,1] op_sel_hi:[1,0,0]
	v_pk_fma_f16 v66, v66, s13, v187 op_sel:[0,0,1] op_sel_hi:[1,0,0] neg_lo:[1,0,0] neg_hi:[1,0,0]
	v_pk_add_f16 v58, v66, v58
	v_pk_mul_f16 v66, v211, s3 op_sel_hi:[1,0]
	v_pk_add_f16 v65, v188, v65
	v_pk_fma_f16 v187, v61, s25, v66 op_sel:[0,0,1] op_sel_hi:[1,0,0]
	v_pk_fma_f16 v61, v61, s25, v66 op_sel:[0,0,1] op_sel_hi:[1,0,0] neg_lo:[1,0,0] neg_hi:[1,0,0]
	v_pk_add_f16 v190, v57, v190
	v_alignbit_b32 v194, s0, v192, 16
	v_pk_add_f16 v58, v61, v58
	v_pk_add_f16 v61, v187, v65
	v_pk_mul_f16 v65, v213, s12 op_sel_hi:[1,0]
	v_pk_add_f16 v190, v194, v190
	v_alignbit_b32 v192, s0, v188, 16
	v_pk_fma_f16 v66, v62, s5, v65 op_sel:[0,0,1] op_sel_hi:[1,0,0]
	v_pk_fma_f16 v62, v62, s5, v65 op_sel:[0,0,1] op_sel_hi:[1,0,0] neg_lo:[1,0,0] neg_hi:[1,0,0]
	v_pk_add_f16 v190, v192, v190
	v_alignbit_b32 v188, s0, v187, 16
	v_pk_add_f16 v58, v62, v58
	v_pk_mul_f16 v62, v215, s2 op_sel_hi:[1,0]
	v_fma_f16 v217, v215, s12, -v217
	v_pk_add_f16 v188, v188, v190
	v_alignbit_b32 v187, s0, v66, 16
	v_pk_fma_f16 v65, v59, s18, v62 op_sel:[0,0,1] op_sel_hi:[1,0,0]
	v_add_f16_e32 v203, v217, v203
	v_fma_f16 v217, v59, s5, v218
	v_pk_add_f16 v187, v187, v188
	v_pk_add_f16 v61, v66, v61
	v_alignbit_b32 v66, s0, v65, 16
	v_pk_fma_f16 v59, v59, s18, v62 op_sel:[0,0,1] op_sel_hi:[1,0,0] neg_lo:[1,0,0] neg_hi:[1,0,0]
	v_pk_add_f16 v66, v66, v187
	v_pk_add_f16 v58, v59, v58
	v_pk_add_f16 v59, v65, v61
	v_add_f16_e32 v205, v217, v205
	v_alignbit_b32 v59, v59, v58, 16
	v_pack_b32_f16 v58, v66, v58
	ds_write2_b32 v86, v58, v59 offset0:6 offset1:7
	v_pack_b32_f16 v58, v199, v201
	v_pack_b32_f16 v59, v203, v205
	ds_write2_b32 v86, v59, v58 offset0:8 offset1:9
	v_pack_b32_f16 v58, v191, v193
	v_pack_b32_f16 v59, v195, v197
	ds_write2_b32 v86, v59, v58 offset0:10 offset1:11
	v_bfi_b32 v58, s26, v186, v189
	v_pk_add_f16 v57, v57, v58
	v_bfi_b32 v58, s26, v68, v208
	v_pk_add_f16 v57, v58, v57
	;; [unrolled: 2-line block ×6, first 2 shown]
	ds_write_b32 v86, v57 offset:48
	s_and_saveexec_b64 s[2:3], s[0:1]
	s_cbranch_execz .LBB0_17
; %bb.16:
	v_add_f16_e32 v50, v50, v49
	v_add_f16_e32 v43, v43, v50
	;; [unrolled: 1-line block ×8, first 2 shown]
	v_mul_f16_e32 v66, 0xb9fd, v143
	v_add_f16_e32 v25, v26, v25
	v_mul_f16_e32 v57, 0x3b15, v142
	v_mul_f16_e32 v59, 0x388b, v142
	;; [unrolled: 1-line block ×10, first 2 shown]
	v_add_f16_e32 v23, v23, v25
	v_add_f16_e32 v25, v133, v66
	v_mul_f16_e32 v190, 0x2fb7, v167
	v_mul_f16_e32 v192, 0xbbc4, v167
	v_mul_f16_e32 v194, 0xb5ac, v167
	v_mul_f16_e32 v196, 0x3b15, v167
	v_mul_f16_e32 v167, 0x388b, v167
	v_add_f16_e32 v25, v104, v25
	v_add_f16_e32 v26, v147, v155
	v_mul_f16_e32 v198, 0xb5ac, v174
	v_mul_f16_e32 v200, 0xb9fd, v174
	v_mul_f16_e32 v202, 0x3b15, v174
	v_mul_f16_e32 v204, 0x2fb7, v174
	v_mul_f16_e32 v174, 0xbbc4, v174
	v_add_f16_e32 v25, v26, v25
	v_add_f16_e32 v26, v159, v167
	v_mul_f16_e32 v206, 0xb9fd, v181
	v_mul_f16_e32 v208, 0x2fb7, v181
	v_mul_f16_e32 v210, 0x388b, v181
	v_mul_f16_e32 v212, 0xbbc4, v181
	v_mul_f16_e32 v181, 0x3b15, v181
	v_add_f16_e32 v25, v26, v25
	v_add_f16_e32 v26, v170, v174
	v_mul_f16_e32 v214, 0xbbc4, v185
	v_mul_f16_e32 v216, 0x3b15, v185
	v_mul_f16_e32 v218, 0xb9fd, v185
	v_mul_f16_e32 v220, 0x388b, v185
	v_mul_f16_e32 v185, 0xb5ac, v185
	v_add_f16_e32 v25, v26, v25
	v_add_f16_e32 v26, v178, v181
	;; [unrolled: 1-line block ×4, first 2 shown]
	v_mul_f16_e32 v58, 0x3b15, v143
	v_mul_f16_e32 v60, 0x388b, v143
	;; [unrolled: 1-line block ×9, first 2 shown]
	v_add_f16_e32 v25, v26, v25
	v_sub_f16_e32 v26, v65, v129
	v_mul_f16_e32 v189, 0x2fb7, v166
	v_mul_f16_e32 v191, 0xbbc4, v166
	v_mul_f16_e32 v193, 0xb5ac, v166
	v_mul_f16_e32 v195, 0x3b15, v166
	v_mul_f16_e32 v166, 0x388b, v166
	v_add_f16_e32 v26, v49, v26
	v_sub_f16_e32 v43, v154, v141
	v_mul_f16_e32 v197, 0xb5ac, v173
	v_mul_f16_e32 v199, 0xb9fd, v173
	v_mul_f16_e32 v201, 0x3b15, v173
	v_mul_f16_e32 v203, 0x2fb7, v173
	v_mul_f16_e32 v173, 0xbbc4, v173
	;; [unrolled: 7-line block ×4, first 2 shown]
	v_add_f16_e32 v26, v43, v26
	v_sub_f16_e32 v43, v180, v176
	v_add_f16_e32 v26, v43, v26
	v_sub_f16_e32 v43, v184, v182
	v_add_f16_e32 v26, v43, v26
	v_add_f16_e32 v43, v126, v64
	;; [unrolled: 1-line block ×13, first 2 shown]
	v_sub_f16_e32 v44, v63, v123
	v_add_f16_e32 v44, v49, v44
	v_sub_f16_e32 v45, v187, v135
	v_add_f16_e32 v44, v45, v44
	;; [unrolled: 2-line block ×6, first 2 shown]
	v_add_f16_e32 v45, v121, v62
	v_add_f16_e32 v45, v104, v45
	;; [unrolled: 1-line block ×12, first 2 shown]
	v_sub_f16_e32 v46, v61, v119
	v_add_f16_e32 v46, v49, v46
	v_sub_f16_e32 v47, v143, v127
	v_add_f16_e32 v46, v47, v46
	;; [unrolled: 2-line block ×6, first 2 shown]
	v_add_f16_e32 v47, v117, v60
	v_add_f16_e32 v47, v104, v47
	;; [unrolled: 1-line block ×14, first 2 shown]
	v_sub_f16_e32 v48, v59, v116
	v_add_f16_e32 v24, v98, v24
	v_add_f16_e32 v48, v49, v48
	v_sub_f16_e32 v50, v86, v122
	v_add_f16_e32 v24, v99, v24
	v_add_f16_e32 v48, v50, v48
	;; [unrolled: 3-line block ×6, first 2 shown]
	v_add_f16_e32 v50, v115, v58
	v_sub_f16_e32 v57, v57, v114
	v_add_f16_e32 v24, v93, v24
	v_add_f16_e32 v50, v104, v50
	v_add_f16_e32 v58, v120, v68
	v_add_f16_e32 v49, v49, v57
	v_sub_f16_e32 v57, v67, v118
	v_add_f16_e32 v24, v91, v24
	v_add_f16_e32 v50, v58, v50
	v_add_f16_e32 v58, v128, v190
	;; [unrolled: 5-line block ×5, first 2 shown]
	v_add_f16_e32 v58, v160, v214
	v_add_f16_e32 v49, v57, v49
	v_sub_f16_e32 v57, v213, v156
	s_mov_b32 s4, 0x5040100
	v_add_f16_e32 v50, v58, v50
	v_add_f16_e32 v49, v57, v49
	v_lshl_add_u32 v57, v87, 2, v84
	v_perm_b32 v58, v106, v51, s4
	v_pack_b32_f16 v23, v23, v24
	ds_write2_b32 v57, v23, v58 offset1:1
	v_perm_b32 v23, v108, v53, s4
	v_perm_b32 v24, v107, v52, s4
	ds_write2_b32 v57, v24, v23 offset0:2 offset1:3
	v_perm_b32 v23, v110, v55, s4
	v_perm_b32 v24, v109, v54, s4
	ds_write2_b32 v57, v24, v23 offset0:4 offset1:5
	;; [unrolled: 3-line block ×3, first 2 shown]
	v_pack_b32_f16 v23, v44, v43
	v_pack_b32_f16 v24, v26, v25
	ds_write2_b32 v57, v24, v23 offset0:8 offset1:9
	v_pack_b32_f16 v23, v48, v47
	v_pack_b32_f16 v24, v46, v45
	ds_write2_b32 v57, v24, v23 offset0:10 offset1:11
	v_pack_b32_f16 v23, v49, v50
	ds_write_b32 v57, v23 offset:48
.LBB0_17:
	s_or_b64 exec, exec, s[2:3]
	v_add_u32_e32 v59, 0x200, v69
	v_add_u32_e32 v43, 0x400, v69
	;; [unrolled: 1-line block ×6, first 2 shown]
	s_waitcnt lgkmcnt(0)
	s_barrier
	ds_read2_b32 v[23:24], v69 offset1:91
	ds_read2_b32 v[25:26], v59 offset0:67 offset1:158
	ds_read2_b32 v[43:44], v43 offset0:134 offset1:225
	;; [unrolled: 1-line block ×6, first 2 shown]
	s_and_saveexec_b64 s[2:3], vcc
	s_cbranch_execz .LBB0_19
; %bb.18:
	v_add_u32_e32 v55, 0xf00, v69
	ds_read2_b32 v[51:52], v59 offset0:54 offset1:249
	ds_read2_b32 v[53:54], v60 offset0:60 offset1:255
	ds_read2_b32 v[55:56], v55 offset0:2 offset1:197
	ds_read_b32 v112, v69 offset:5408
	s_waitcnt lgkmcnt(3)
	v_lshrrev_b32_e32 v106, 16, v51
	v_lshrrev_b32_e32 v107, 16, v52
	s_waitcnt lgkmcnt(2)
	v_lshrrev_b32_e32 v108, 16, v53
	v_lshrrev_b32_e32 v109, 16, v54
	;; [unrolled: 3-line block ×3, first 2 shown]
	s_waitcnt lgkmcnt(0)
	v_lshrrev_b32_e32 v113, 16, v112
.LBB0_19:
	s_or_b64 exec, exec, s[2:3]
	s_waitcnt lgkmcnt(5)
	v_lshrrev_b32_e32 v62, 16, v25
	v_mul_f16_sdwa v90, v4, v62 dst_sel:DWORD dst_unused:UNUSED_PAD src0_sel:WORD_1 src1_sel:DWORD
	s_waitcnt lgkmcnt(4)
	v_lshrrev_b32_e32 v63, 16, v43
	v_fma_f16 v90, v4, v25, v90
	v_mul_f16_sdwa v25, v4, v25 dst_sel:DWORD dst_unused:UNUSED_PAD src0_sel:WORD_1 src1_sel:DWORD
	v_fma_f16 v4, v4, v62, -v25
	v_mul_f16_sdwa v25, v5, v63 dst_sel:DWORD dst_unused:UNUSED_PAD src0_sel:WORD_1 src1_sel:DWORD
	s_waitcnt lgkmcnt(3)
	v_lshrrev_b32_e32 v64, 16, v45
	v_fma_f16 v25, v5, v43, v25
	v_mul_f16_sdwa v43, v5, v43 dst_sel:DWORD dst_unused:UNUSED_PAD src0_sel:WORD_1 src1_sel:DWORD
	v_fma_f16 v5, v5, v63, -v43
	;; [unrolled: 6-line block ×5, first 2 shown]
	v_mul_f16_sdwa v49, v32, v67 dst_sel:DWORD dst_unused:UNUSED_PAD src0_sel:WORD_1 src1_sel:DWORD
	v_lshrrev_b32_e32 v68, 16, v26
	v_fma_f16 v49, v32, v57, v49
	v_mul_f16_sdwa v57, v32, v57 dst_sel:DWORD dst_unused:UNUSED_PAD src0_sel:WORD_1 src1_sel:DWORD
	v_fma_f16 v32, v32, v67, -v57
	v_mul_f16_sdwa v57, v8, v68 dst_sel:DWORD dst_unused:UNUSED_PAD src0_sel:WORD_1 src1_sel:DWORD
	v_lshrrev_b32_e32 v84, 16, v44
	v_fma_f16 v57, v8, v26, v57
	v_mul_f16_sdwa v26, v8, v26 dst_sel:DWORD dst_unused:UNUSED_PAD src0_sel:WORD_1 src1_sel:DWORD
	v_fma_f16 v8, v8, v68, -v26
	;; [unrolled: 5-line block ×6, first 2 shown]
	v_mul_f16_sdwa v50, v30, v89 dst_sel:DWORD dst_unused:UNUSED_PAD src0_sel:WORD_1 src1_sel:DWORD
	v_fma_f16 v50, v30, v58, v50
	v_mul_f16_sdwa v58, v30, v58 dst_sel:DWORD dst_unused:UNUSED_PAD src0_sel:WORD_1 src1_sel:DWORD
	v_fma_f16 v30, v30, v89, -v58
	v_add_f16_e32 v58, v90, v49
	v_add_f16_e32 v62, v4, v32
	v_sub_f16_e32 v4, v4, v32
	v_add_f16_e32 v32, v25, v47
	v_add_f16_e32 v63, v5, v31
	v_sub_f16_e32 v49, v90, v49
	v_sub_f16_e32 v25, v25, v47
	;; [unrolled: 1-line block ×3, first 2 shown]
	v_add_f16_e32 v31, v43, v45
	v_add_f16_e32 v47, v6, v7
	v_sub_f16_e32 v43, v45, v43
	v_sub_f16_e32 v6, v7, v6
	v_add_f16_e32 v7, v32, v58
	v_add_f16_e32 v45, v63, v62
	v_sub_f16_e32 v64, v32, v58
	v_sub_f16_e32 v65, v63, v62
	;; [unrolled: 1-line block ×6, first 2 shown]
	v_add_f16_e32 v66, v43, v25
	v_add_f16_e32 v67, v6, v5
	v_sub_f16_e32 v68, v43, v25
	v_sub_f16_e32 v84, v6, v5
	;; [unrolled: 1-line block ×4, first 2 shown]
	v_add_f16_e32 v7, v31, v7
	v_add_f16_e32 v31, v47, v45
	v_sub_f16_e32 v43, v49, v43
	v_sub_f16_e32 v6, v4, v6
	v_add_f16_e32 v45, v66, v49
	v_add_f16_e32 v4, v67, v4
	;; [unrolled: 1-line block ×3, first 2 shown]
	v_add_f16_sdwa v23, v23, v31 dst_sel:DWORD dst_unused:UNUSED_PAD src0_sel:WORD_1 src1_sel:DWORD
	v_mul_f16_e32 v49, 0x3a52, v58
	v_mul_f16_e32 v58, 0x3a52, v62
	s_movk_i32 s15, 0x2b26
	v_mul_f16_e32 v62, 0x2b26, v32
	v_mul_f16_e32 v66, 0x2b26, v63
	;; [unrolled: 1-line block ×4, first 2 shown]
	s_mov_b32 s4, 0xbb00
	v_mul_f16_e32 v84, 0xbb00, v25
	v_mul_f16_e32 v86, 0xbb00, v5
	s_mov_b32 s16, 0xbcab
	s_movk_i32 s5, 0x39e0
	s_mov_b32 s12, 0xb9e0
	s_mov_b32 s17, 0xb574
	s_movk_i32 s13, 0x3574
	v_fma_f16 v7, v7, s16, v47
	v_fma_f16 v31, v31, s16, v23
	;; [unrolled: 1-line block ×4, first 2 shown]
	v_fma_f16 v62, v64, s5, -v62
	v_fma_f16 v66, v65, s5, -v66
	;; [unrolled: 1-line block ×4, first 2 shown]
	v_fma_f16 v64, v43, s17, v67
	v_fma_f16 v65, v6, s17, v68
	v_fma_f16 v5, v5, s4, -v68
	v_fma_f16 v43, v43, s13, -v84
	;; [unrolled: 1-line block ×3, first 2 shown]
	s_mov_b32 s14, 0xb70e
	v_fma_f16 v25, v25, s4, -v67
	v_add_f16_e32 v32, v32, v7
	v_add_f16_e32 v63, v63, v31
	;; [unrolled: 1-line block ×6, first 2 shown]
	v_fma_f16 v49, v45, s14, v64
	v_fma_f16 v58, v4, s14, v65
	;; [unrolled: 1-line block ×6, first 2 shown]
	v_add_f16_e32 v6, v58, v32
	v_sub_f16_e32 v45, v63, v49
	v_add_f16_e32 v64, v4, v7
	v_sub_f16_e32 v65, v31, v43
	v_sub_f16_e32 v4, v7, v4
	v_add_f16_e32 v7, v43, v31
	v_sub_f16_e32 v31, v32, v58
	v_add_f16_e32 v32, v49, v63
	v_add_f16_e32 v43, v57, v50
	;; [unrolled: 1-line block ×3, first 2 shown]
	v_sub_f16_e32 v50, v57, v50
	v_sub_f16_e32 v8, v8, v30
	v_add_f16_e32 v30, v26, v48
	v_add_f16_e32 v57, v9, v29
	v_sub_f16_e32 v26, v26, v48
	v_sub_f16_e32 v9, v9, v29
	v_add_f16_e32 v29, v44, v46
	v_add_f16_e32 v48, v10, v11
	v_sub_f16_e32 v44, v46, v44
	v_sub_f16_e32 v10, v11, v10
	v_add_f16_e32 v11, v30, v43
	v_add_f16_e32 v46, v57, v49
	v_sub_f16_e32 v67, v62, v5
	v_add_f16_e32 v68, v25, v66
	v_add_f16_e32 v5, v5, v62
	v_sub_f16_e32 v25, v66, v25
	v_sub_f16_e32 v58, v30, v43
	;; [unrolled: 1-line block ×7, first 2 shown]
	v_add_f16_e32 v63, v44, v26
	v_add_f16_e32 v66, v10, v9
	v_sub_f16_e32 v84, v44, v26
	v_sub_f16_e32 v86, v10, v9
	v_add_f16_e32 v11, v29, v11
	v_add_f16_e32 v29, v48, v46
	v_sub_f16_e32 v44, v50, v44
	v_sub_f16_e32 v10, v8, v10
	;; [unrolled: 1-line block ×4, first 2 shown]
	v_add_f16_e32 v46, v63, v50
	v_add_f16_e32 v8, v66, v8
	v_add_f16_e32 v48, v24, v11
	v_add_f16_sdwa v24, v24, v29 dst_sel:DWORD dst_unused:UNUSED_PAD src0_sel:WORD_1 src1_sel:DWORD
	v_mul_f16_e32 v43, 0x3a52, v43
	v_mul_f16_e32 v49, 0x3a52, v49
	;; [unrolled: 1-line block ×8, first 2 shown]
	v_fma_f16 v11, v11, s16, v48
	v_fma_f16 v29, v29, s16, v24
	;; [unrolled: 1-line block ×4, first 2 shown]
	v_fma_f16 v50, v58, s5, -v50
	v_fma_f16 v63, v62, s5, -v63
	;; [unrolled: 1-line block ×4, first 2 shown]
	v_fma_f16 v58, v44, s17, v66
	v_fma_f16 v62, v10, s17, v84
	v_fma_f16 v26, v26, s4, -v66
	v_fma_f16 v9, v9, s4, -v84
	;; [unrolled: 1-line block ×4, first 2 shown]
	v_add_f16_e32 v30, v30, v11
	v_add_f16_e32 v57, v57, v29
	;; [unrolled: 1-line block ×6, first 2 shown]
	v_fma_f16 v43, v46, s14, v58
	v_fma_f16 v49, v8, s14, v62
	v_pack_b32_f16 v5, v5, v25
	v_pack_b32_f16 v4, v4, v7
	v_fma_f16 v26, v46, s14, v26
	v_fma_f16 v9, v8, s14, v9
	;; [unrolled: 1-line block ×4, first 2 shown]
	v_add_f16_e32 v10, v49, v30
	v_sub_f16_e32 v46, v57, v43
	s_barrier
	v_pack_b32_f16 v23, v47, v23
	v_pack_b32_f16 v6, v6, v45
	ds_write2_b32 v96, v5, v4 offset0:52 offset1:65
	v_pack_b32_f16 v4, v31, v32
	v_add_f16_e32 v58, v8, v11
	v_sub_f16_e32 v62, v29, v44
	v_sub_f16_e32 v66, v50, v9
	v_add_f16_e32 v84, v26, v63
	ds_write2_b32 v96, v23, v6 offset1:13
	v_pack_b32_f16 v6, v64, v65
	v_pack_b32_f16 v23, v67, v68
	ds_write_b32 v96, v4 offset:312
	v_pack_b32_f16 v4, v48, v24
	v_pack_b32_f16 v5, v10, v46
	v_add_f16_e32 v9, v9, v50
	v_sub_f16_e32 v26, v63, v26
	v_sub_f16_e32 v8, v11, v8
	v_add_f16_e32 v11, v44, v29
	ds_write2_b32 v96, v6, v23 offset0:26 offset1:39
	ds_write2_b32 v97, v4, v5 offset1:13
	v_pack_b32_f16 v4, v58, v62
	v_pack_b32_f16 v5, v66, v84
	v_sub_f16_e32 v29, v30, v49
	v_add_f16_e32 v30, v43, v57
	ds_write2_b32 v97, v4, v5 offset0:26 offset1:39
	v_pack_b32_f16 v4, v9, v26
	v_pack_b32_f16 v5, v8, v11
	v_add_u32_e32 v61, 0x2d8, v69
	v_add_u32_e32 v60, 0x444, v69
	;; [unrolled: 1-line block ×3, first 2 shown]
	ds_write2_b32 v97, v4, v5 offset0:52 offset1:65
	v_pack_b32_f16 v4, v29, v30
	ds_write_b32 v97, v4 offset:312
	s_and_saveexec_b64 s[2:3], vcc
	s_cbranch_execz .LBB0_21
; %bb.20:
	v_mul_f16_sdwa v5, v28, v113 dst_sel:DWORD dst_unused:UNUSED_PAD src0_sel:WORD_1 src1_sel:DWORD
	v_mul_f16_sdwa v8, v2, v109 dst_sel:DWORD dst_unused:UNUSED_PAD src0_sel:WORD_1 src1_sel:DWORD
	;; [unrolled: 1-line block ×7, first 2 shown]
	v_fma_f16 v5, v28, v112, v5
	v_mul_f16_sdwa v7, v3, v110 dst_sel:DWORD dst_unused:UNUSED_PAD src0_sel:WORD_1 src1_sel:DWORD
	v_fma_f16 v8, v2, v54, v8
	v_mul_f16_sdwa v11, v1, v108 dst_sel:DWORD dst_unused:UNUSED_PAD src0_sel:WORD_1 src1_sel:DWORD
	v_fma_f16 v23, v27, v56, v23
	v_fma_f16 v28, v28, v113, -v29
	v_mul_f16_sdwa v29, v0, v52 dst_sel:DWORD dst_unused:UNUSED_PAD src0_sel:WORD_1 src1_sel:DWORD
	v_fma_f16 v2, v2, v109, -v30
	v_mul_f16_sdwa v30, v3, v55 dst_sel:DWORD dst_unused:UNUSED_PAD src0_sel:WORD_1 src1_sel:DWORD
	;; [unrolled: 2-line block ×3, first 2 shown]
	v_fma_f16 v4, v0, v52, v4
	v_fma_f16 v7, v3, v55, v7
	v_fma_f16 v11, v1, v53, v11
	v_fma_f16 v0, v0, v107, -v29
	v_fma_f16 v3, v3, v110, -v30
	v_fma_f16 v1, v1, v108, -v32
	v_sub_f16_e32 v6, v4, v5
	v_sub_f16_e32 v9, v7, v8
	;; [unrolled: 1-line block ×3, first 2 shown]
	v_add_f16_e32 v29, v28, v0
	v_add_f16_e32 v30, v3, v2
	;; [unrolled: 1-line block ×3, first 2 shown]
	v_sub_f16_e32 v0, v0, v28
	v_sub_f16_e32 v2, v3, v2
	;; [unrolled: 1-line block ×5, first 2 shown]
	v_add_f16_e32 v9, v9, v24
	v_add_f16_e32 v4, v5, v4
	;; [unrolled: 1-line block ×4, first 2 shown]
	v_sub_f16_e32 v3, v0, v2
	v_sub_f16_e32 v27, v2, v1
	v_add_f16_e32 v2, v2, v1
	v_add_f16_e32 v9, v9, v6
	;; [unrolled: 1-line block ×5, first 2 shown]
	v_sub_f16_e32 v6, v24, v6
	v_sub_f16_e32 v0, v1, v0
	v_mul_f16_e32 v25, 0x3846, v25
	v_sub_f16_e32 v31, v29, v30
	v_sub_f16_e32 v43, v30, v32
	v_add_f16_e32 v30, v30, v45
	v_sub_f16_e32 v7, v4, v5
	v_sub_f16_e32 v11, v5, v8
	v_add_f16_e32 v5, v5, v47
	v_mul_f16_e32 v27, 0x3846, v27
	v_mul_f16_e32 v24, 0xbb00, v6
	;; [unrolled: 1-line block ×3, first 2 shown]
	v_fma_f16 v26, v10, s17, v25
	v_mul_f16_e32 v31, 0x3a52, v31
	v_mul_f16_e32 v44, 0x2b26, v43
	v_add_f16_e32 v45, v106, v30
	v_mul_f16_e32 v7, 0x3a52, v7
	v_mul_f16_e32 v23, 0x2b26, v11
	v_add_f16_e32 v47, v51, v5
	v_fma_f16 v28, v3, s17, v27
	v_fma_f16 v10, v10, s13, -v24
	v_sub_f16_e32 v24, v32, v29
	v_sub_f16_e32 v4, v8, v4
	v_fma_f16 v1, v3, s13, -v1
	v_fma_f16 v0, v0, s4, -v27
	v_fma_f16 v30, v30, s16, v45
	v_fma_f16 v11, v11, s15, v7
	;; [unrolled: 1-line block ×4, first 2 shown]
	v_fma_f16 v29, v24, s12, -v31
	v_fma_f16 v7, v4, s12, -v7
	v_fma_f16 v1, v2, s14, v1
	v_fma_f16 v8, v24, s5, -v44
	v_fma_f16 v6, v6, s4, -v25
	v_fma_f16 v0, v2, s14, v0
	v_fma_f16 v2, v4, s5, -v23
	v_fma_f16 v10, v9, s14, v10
	v_add_f16_e32 v29, v29, v30
	v_add_f16_e32 v7, v7, v5
	;; [unrolled: 1-line block ×3, first 2 shown]
	v_fma_f16 v6, v9, s14, v6
	v_add_f16_e32 v2, v2, v5
	v_fma_f16 v43, v43, s15, v31
	v_add_f16_e32 v11, v11, v5
	v_sub_f16_e32 v3, v7, v1
	v_add_f16_e32 v4, v0, v2
	v_add_f16_e32 v5, v6, v8
	v_sub_f16_e32 v0, v2, v0
	v_sub_f16_e32 v2, v29, v10
	v_add_f16_e32 v1, v1, v7
	v_fma_f16 v26, v9, s14, v26
	v_add_f16_e32 v43, v43, v30
	v_add_f16_e32 v31, v10, v29
	v_sub_f16_e32 v9, v8, v6
	v_pack_b32_f16 v1, v1, v2
	v_pack_b32_f16 v0, v0, v5
	v_add_u32_e32 v2, 0x1400, v94
	v_add_f16_e32 v46, v26, v43
	v_sub_f16_e32 v48, v11, v28
	v_sub_f16_e32 v6, v43, v26
	v_add_f16_e32 v7, v28, v11
	ds_write2_b32 v2, v1, v0 offset0:20 offset1:33
	v_pack_b32_f16 v0, v4, v9
	v_pack_b32_f16 v1, v3, v31
	;; [unrolled: 1-line block ×4, first 2 shown]
	v_add_u32_e32 v7, 0x1200, v94
	ds_write2_b32 v2, v0, v1 offset0:46 offset1:59
	v_pack_b32_f16 v0, v48, v46
	ds_write2_b32 v7, v8, v6 offset0:122 offset1:135
	ds_write_b32 v94, v0 offset:5408
.LBB0_21:
	s_or_b64 exec, exec, s[2:3]
	v_add_u32_e32 v7, 0x200, v69
	s_waitcnt lgkmcnt(0)
	s_barrier
	ds_read2_b32 v[8:9], v7 offset0:54 offset1:145
	v_add_u32_e32 v5, 0x800, v69
	ds_read2_b32 v[10:11], v5 offset0:34 offset1:125
	v_add_u32_e32 v2, 0xa00, v69
	ds_read2_b32 v[23:24], v2 offset0:88 offset1:179
	s_waitcnt lgkmcnt(2)
	v_lshrrev_b32_e32 v32, 16, v9
	v_add_u32_e32 v3, 0x1000, v69
	ds_read2_b32 v[25:26], v3 offset0:68 offset1:159
	v_mul_f16_sdwa v57, v12, v32 dst_sel:DWORD dst_unused:UNUSED_PAD src0_sel:WORD_1 src1_sel:DWORD
	s_waitcnt lgkmcnt(2)
	v_lshrrev_b32_e32 v43, 16, v10
	v_add_u32_e32 v6, 0x400, v69
	v_fma_f16 v57, v12, v9, v57
	v_mul_f16_sdwa v9, v12, v9 dst_sel:DWORD dst_unused:UNUSED_PAD src0_sel:WORD_1 src1_sel:DWORD
	ds_read2_b32 v[27:28], v6 offset0:108 offset1:199
	v_fma_f16 v9, v12, v32, -v9
	v_mul_f16_sdwa v32, v13, v43 dst_sel:DWORD dst_unused:UNUSED_PAD src0_sel:WORD_1 src1_sel:DWORD
	s_waitcnt lgkmcnt(2)
	v_lshrrev_b32_e32 v44, 16, v24
	v_fma_f16 v32, v13, v10, v32
	v_mul_f16_sdwa v10, v13, v10 dst_sel:DWORD dst_unused:UNUSED_PAD src0_sel:WORD_1 src1_sel:DWORD
	v_fma_f16 v10, v13, v43, -v10
	v_mul_f16_sdwa v43, v14, v44 dst_sel:DWORD dst_unused:UNUSED_PAD src0_sel:WORD_1 src1_sel:DWORD
	v_add_u32_e32 v4, 0xc00, v69
	s_waitcnt lgkmcnt(1)
	v_lshrrev_b32_e32 v45, 16, v25
	v_fma_f16 v43, v14, v24, v43
	v_mul_f16_sdwa v24, v14, v24 dst_sel:DWORD dst_unused:UNUSED_PAD src0_sel:WORD_1 src1_sel:DWORD
	ds_read2_b32 v[29:30], v4 offset0:142 offset1:233
	v_fma_f16 v24, v14, v44, -v24
	v_mul_f16_sdwa v44, v15, v45 dst_sel:DWORD dst_unused:UNUSED_PAD src0_sel:WORD_1 src1_sel:DWORD
	s_waitcnt lgkmcnt(1)
	v_lshrrev_b32_e32 v47, 16, v27
	v_fma_f16 v44, v15, v25, v44
	v_mul_f16_sdwa v25, v15, v25 dst_sel:DWORD dst_unused:UNUSED_PAD src0_sel:WORD_1 src1_sel:DWORD
	v_fma_f16 v25, v15, v45, -v25
	v_mul_f16_sdwa v45, v12, v47 dst_sel:DWORD dst_unused:UNUSED_PAD src0_sel:WORD_1 src1_sel:DWORD
	v_lshrrev_b32_e32 v48, 16, v11
	v_fma_f16 v45, v12, v27, v45
	v_mul_f16_sdwa v27, v12, v27 dst_sel:DWORD dst_unused:UNUSED_PAD src0_sel:WORD_1 src1_sel:DWORD
	v_fma_f16 v12, v12, v47, -v27
	v_mul_f16_sdwa v27, v13, v48 dst_sel:DWORD dst_unused:UNUSED_PAD src0_sel:WORD_1 src1_sel:DWORD
	s_waitcnt lgkmcnt(0)
	v_lshrrev_b32_e32 v49, 16, v29
	v_fma_f16 v27, v13, v11, v27
	v_mul_f16_sdwa v11, v13, v11 dst_sel:DWORD dst_unused:UNUSED_PAD src0_sel:WORD_1 src1_sel:DWORD
	v_fma_f16 v11, v13, v48, -v11
	v_mul_f16_sdwa v13, v14, v49 dst_sel:DWORD dst_unused:UNUSED_PAD src0_sel:WORD_1 src1_sel:DWORD
	v_lshrrev_b32_e32 v50, 16, v26
	v_fma_f16 v13, v14, v29, v13
	v_mul_f16_sdwa v29, v14, v29 dst_sel:DWORD dst_unused:UNUSED_PAD src0_sel:WORD_1 src1_sel:DWORD
	v_fma_f16 v14, v14, v49, -v29
	v_mul_f16_sdwa v29, v15, v50 dst_sel:DWORD dst_unused:UNUSED_PAD src0_sel:WORD_1 src1_sel:DWORD
	v_lshrrev_b32_e32 v53, 16, v28
	v_fma_f16 v29, v15, v26, v29
	v_mul_f16_sdwa v26, v15, v26 dst_sel:DWORD dst_unused:UNUSED_PAD src0_sel:WORD_1 src1_sel:DWORD
	ds_read_b32 v51, v69 offset:5096
	v_fma_f16 v15, v15, v50, -v26
	v_mul_f16_sdwa v26, v16, v53 dst_sel:DWORD dst_unused:UNUSED_PAD src0_sel:WORD_1 src1_sel:DWORD
	ds_read2_b32 v[0:1], v69 offset1:91
	v_lshrrev_b32_e32 v54, 16, v23
	v_fma_f16 v26, v16, v28, v26
	v_mul_f16_sdwa v28, v16, v28 dst_sel:DWORD dst_unused:UNUSED_PAD src0_sel:WORD_1 src1_sel:DWORD
	v_fma_f16 v16, v16, v53, -v28
	v_mul_f16_sdwa v28, v17, v54 dst_sel:DWORD dst_unused:UNUSED_PAD src0_sel:WORD_1 src1_sel:DWORD
	v_lshrrev_b32_e32 v55, 16, v30
	v_fma_f16 v28, v17, v23, v28
	v_mul_f16_sdwa v23, v17, v23 dst_sel:DWORD dst_unused:UNUSED_PAD src0_sel:WORD_1 src1_sel:DWORD
	v_fma_f16 v17, v17, v54, -v23
	v_mul_f16_sdwa v23, v18, v55 dst_sel:DWORD dst_unused:UNUSED_PAD src0_sel:WORD_1 src1_sel:DWORD
	s_waitcnt lgkmcnt(1)
	v_lshrrev_b32_e32 v56, 16, v51
	v_fma_f16 v23, v18, v30, v23
	v_mul_f16_sdwa v30, v18, v30 dst_sel:DWORD dst_unused:UNUSED_PAD src0_sel:WORD_1 src1_sel:DWORD
	v_add_f16_e32 v48, v32, v43
	v_fma_f16 v18, v18, v55, -v30
	v_mul_f16_sdwa v30, v19, v56 dst_sel:DWORD dst_unused:UNUSED_PAD src0_sel:WORD_1 src1_sel:DWORD
	s_waitcnt lgkmcnt(0)
	v_fma_f16 v48, v48, -0.5, v0
	v_sub_f16_e32 v49, v9, v25
	s_mov_b32 s2, 0xbb9c
	s_movk_i32 s5, 0x3b9c
	v_fma_f16 v30, v19, v51, v30
	v_mul_f16_sdwa v47, v19, v51 dst_sel:DWORD dst_unused:UNUSED_PAD src0_sel:WORD_1 src1_sel:DWORD
	v_fma_f16 v50, v49, s2, v48
	v_sub_f16_e32 v51, v10, v24
	s_mov_b32 s3, 0xb8b4
	v_sub_f16_e32 v53, v57, v32
	v_sub_f16_e32 v54, v44, v43
	v_fma_f16 v48, v49, s5, v48
	s_movk_i32 s12, 0x38b4
	v_fma_f16 v50, v51, s3, v50
	v_add_f16_e32 v53, v53, v54
	s_movk_i32 s4, 0x34f2
	v_fma_f16 v48, v51, s12, v48
	v_fma_f16 v19, v19, v56, -v47
	v_add_f16_e32 v47, v0, v57
	v_fma_f16 v50, v53, s4, v50
	v_fma_f16 v48, v53, s4, v48
	v_add_f16_e32 v53, v57, v44
	v_lshrrev_b32_e32 v31, 16, v0
	v_add_f16_e32 v47, v47, v32
	v_fma_f16 v0, v53, -0.5, v0
	v_add_f16_e32 v47, v47, v43
	v_fma_f16 v53, v51, s5, v0
	v_sub_f16_e32 v54, v32, v57
	v_sub_f16_e32 v55, v43, v44
	v_fma_f16 v0, v51, s2, v0
	v_add_f16_e32 v51, v10, v24
	v_add_f16_e32 v47, v47, v44
	v_fma_f16 v53, v49, s3, v53
	v_add_f16_e32 v54, v54, v55
	v_fma_f16 v0, v49, s12, v0
	v_fma_f16 v51, v51, -0.5, v31
	v_sub_f16_e32 v44, v57, v44
	v_fma_f16 v53, v54, s4, v53
	v_fma_f16 v0, v54, s4, v0
	;; [unrolled: 1-line block ×3, first 2 shown]
	v_sub_f16_e32 v32, v32, v43
	v_fma_f16 v43, v32, s12, v54
	v_sub_f16_e32 v54, v9, v10
	v_sub_f16_e32 v55, v25, v24
	v_fma_f16 v51, v44, s2, v51
	v_add_f16_e32 v49, v31, v9
	v_add_f16_e32 v54, v54, v55
	v_fma_f16 v51, v32, s3, v51
	v_add_f16_e32 v49, v49, v10
	v_fma_f16 v43, v54, s4, v43
	v_fma_f16 v51, v54, s4, v51
	v_add_f16_e32 v54, v9, v25
	v_add_f16_e32 v49, v49, v24
	v_fma_f16 v31, v54, -0.5, v31
	v_add_f16_e32 v49, v49, v25
	v_fma_f16 v54, v32, s2, v31
	v_sub_f16_e32 v9, v10, v9
	v_sub_f16_e32 v10, v24, v25
	v_add_f16_e32 v25, v27, v13
	v_fma_f16 v54, v44, s12, v54
	v_add_f16_e32 v9, v9, v10
	v_fma_f16 v24, v32, s5, v31
	v_fma_f16 v25, v25, -0.5, v1
	v_sub_f16_e32 v31, v12, v15
	v_fma_f16 v10, v9, s4, v54
	v_fma_f16 v24, v44, s3, v24
	;; [unrolled: 1-line block ×3, first 2 shown]
	v_sub_f16_e32 v44, v11, v14
	v_sub_f16_e32 v54, v45, v27
	;; [unrolled: 1-line block ×3, first 2 shown]
	v_fma_f16 v25, v31, s5, v25
	v_fma_f16 v32, v44, s3, v32
	v_add_f16_e32 v54, v54, v55
	v_fma_f16 v25, v44, s12, v25
	v_fma_f16 v9, v9, s4, v24
	v_add_f16_e32 v24, v1, v45
	;; [unrolled: 3-line block ×3, first 2 shown]
	v_lshrrev_b32_e32 v46, 16, v1
	v_add_f16_e32 v24, v24, v27
	v_fma_f16 v1, v54, -0.5, v1
	v_add_f16_e32 v24, v24, v13
	v_fma_f16 v54, v44, s5, v1
	v_fma_f16 v1, v44, s2, v1
	v_add_f16_e32 v44, v11, v14
	v_add_f16_e32 v24, v24, v29
	v_sub_f16_e32 v55, v27, v45
	v_sub_f16_e32 v56, v13, v29
	v_fma_f16 v44, v44, -0.5, v46
	v_sub_f16_e32 v29, v45, v29
	v_fma_f16 v54, v31, s3, v54
	v_add_f16_e32 v55, v55, v56
	v_fma_f16 v1, v31, s12, v1
	v_fma_f16 v45, v29, s5, v44
	v_sub_f16_e32 v13, v27, v13
	v_fma_f16 v54, v55, s4, v54
	v_fma_f16 v1, v55, s4, v1
	;; [unrolled: 1-line block ×3, first 2 shown]
	v_sub_f16_e32 v45, v12, v11
	v_sub_f16_e32 v55, v15, v14
	v_fma_f16 v44, v29, s2, v44
	v_add_f16_e32 v45, v45, v55
	v_fma_f16 v44, v13, s3, v44
	v_add_f16_e32 v31, v46, v12
	v_fma_f16 v27, v45, s4, v27
	v_fma_f16 v44, v45, s4, v44
	v_add_f16_e32 v45, v12, v15
	v_add_f16_e32 v31, v31, v11
	v_fma_f16 v45, v45, -0.5, v46
	v_add_f16_e32 v31, v31, v14
	v_fma_f16 v46, v13, s2, v45
	v_sub_f16_e32 v11, v11, v12
	v_sub_f16_e32 v12, v14, v15
	v_add_f16_e32 v14, v28, v23
	v_add_f16_e32 v31, v31, v15
	v_fma_f16 v46, v29, s12, v46
	v_add_f16_e32 v11, v11, v12
	v_fma_f16 v13, v13, s5, v45
	v_fma_f16 v14, v14, -0.5, v8
	v_sub_f16_e32 v15, v16, v19
	v_fma_f16 v12, v11, s4, v46
	v_fma_f16 v13, v29, s3, v13
	;; [unrolled: 1-line block ×3, first 2 shown]
	v_sub_f16_e32 v45, v17, v18
	v_sub_f16_e32 v46, v26, v28
	;; [unrolled: 1-line block ×3, first 2 shown]
	v_fma_f16 v14, v15, s5, v14
	v_fma_f16 v29, v45, s3, v29
	v_add_f16_e32 v46, v46, v55
	v_fma_f16 v14, v45, s12, v14
	v_fma_f16 v29, v46, s4, v29
	;; [unrolled: 1-line block ×3, first 2 shown]
	v_add_f16_e32 v46, v26, v30
	v_lshrrev_b32_e32 v52, 16, v8
	v_fma_f16 v11, v11, s4, v13
	v_add_f16_e32 v13, v8, v26
	v_fma_f16 v8, v46, -0.5, v8
	v_add_f16_e32 v13, v13, v28
	v_fma_f16 v46, v45, s5, v8
	v_fma_f16 v8, v45, s2, v8
	v_add_f16_e32 v45, v17, v18
	v_add_f16_e32 v13, v13, v23
	v_sub_f16_e32 v55, v28, v26
	v_sub_f16_e32 v56, v23, v30
	v_fma_f16 v45, v45, -0.5, v52
	v_sub_f16_e32 v26, v26, v30
	v_add_f16_e32 v13, v13, v30
	v_fma_f16 v46, v15, s3, v46
	v_add_f16_e32 v55, v55, v56
	v_fma_f16 v8, v15, s12, v8
	v_fma_f16 v30, v26, s5, v45
	v_sub_f16_e32 v23, v28, v23
	v_fma_f16 v46, v55, s4, v46
	v_fma_f16 v8, v55, s4, v8
	;; [unrolled: 1-line block ×3, first 2 shown]
	v_sub_f16_e32 v30, v16, v17
	v_sub_f16_e32 v55, v19, v18
	v_fma_f16 v45, v26, s2, v45
	v_add_f16_e32 v30, v30, v55
	v_fma_f16 v45, v23, s3, v45
	v_add_f16_e32 v15, v52, v16
	v_fma_f16 v28, v30, s4, v28
	v_fma_f16 v30, v30, s4, v45
	v_add_f16_e32 v45, v16, v19
	v_pack_b32_f16 v10, v53, v10
	v_pack_b32_f16 v0, v0, v9
	v_add_f16_e32 v15, v15, v17
	v_fma_f16 v45, v45, -0.5, v52
	s_barrier
	ds_write2_b32 v7, v10, v0 offset0:54 offset1:145
	v_pack_b32_f16 v0, v48, v51
	v_pack_b32_f16 v9, v24, v31
	v_add_f16_e32 v15, v15, v18
	v_fma_f16 v52, v23, s2, v45
	v_sub_f16_e32 v16, v17, v16
	v_sub_f16_e32 v17, v18, v19
	v_fma_f16 v18, v23, s5, v45
	ds_write2_b32 v6, v0, v9 offset0:108 offset1:199
	v_pack_b32_f16 v0, v32, v27
	v_pack_b32_f16 v9, v54, v12
	v_add_f16_e32 v15, v15, v19
	v_fma_f16 v52, v26, s12, v52
	v_add_f16_e32 v16, v16, v17
	v_fma_f16 v18, v26, s3, v18
	ds_write2_b32 v5, v0, v9 offset0:34 offset1:125
	v_pack_b32_f16 v0, v1, v11
	v_pack_b32_f16 v1, v25, v44
	v_fma_f16 v17, v16, s4, v52
	v_fma_f16 v16, v16, s4, v18
	v_pack_b32_f16 v18, v47, v49
	v_pack_b32_f16 v19, v50, v43
	ds_write2_b32 v2, v0, v1 offset0:88 offset1:179
	v_pack_b32_f16 v0, v13, v15
	v_pack_b32_f16 v1, v29, v28
	v_add_u32_e32 v9, 0xc00, v95
	ds_write2_b32 v69, v18, v19 offset1:91
	ds_write2_b32 v9, v0, v1 offset0:142 offset1:233
	v_pack_b32_f16 v0, v46, v17
	v_pack_b32_f16 v1, v8, v16
	v_add_u32_e32 v8, 0x1000, v95
	ds_write2_b32 v8, v0, v1 offset0:68 offset1:159
	v_pack_b32_f16 v0, v14, v30
	ds_write_b32 v95, v0 offset:5096
	s_waitcnt lgkmcnt(0)
	s_barrier
	ds_read2_b32 v[0:1], v69 offset1:91
	ds_read2_b32 v[8:9], v6 offset0:108 offset1:199
	ds_read2_b32 v[10:11], v4 offset0:142 offset1:233
	ds_read2_b32 v[12:13], v5 offset0:34 offset1:125
	ds_read2_b32 v[16:17], v3 offset0:68 offset1:159
	ds_read2_b32 v[18:19], v2 offset0:88 offset1:179
	s_waitcnt lgkmcnt(4)
	v_lshrrev_b32_e32 v24, 16, v9
	v_mul_f16_sdwa v48, v33, v24 dst_sel:DWORD dst_unused:UNUSED_PAD src0_sel:WORD_1 src1_sel:DWORD
	s_waitcnt lgkmcnt(3)
	v_lshrrev_b32_e32 v25, 16, v10
	v_fma_f16 v48, v33, v9, v48
	v_mul_f16_sdwa v9, v33, v9 dst_sel:DWORD dst_unused:UNUSED_PAD src0_sel:WORD_1 src1_sel:DWORD
	v_fma_f16 v9, v33, v24, -v9
	v_mul_f16_sdwa v24, v34, v25 dst_sel:DWORD dst_unused:UNUSED_PAD src0_sel:WORD_1 src1_sel:DWORD
	s_waitcnt lgkmcnt(2)
	v_lshrrev_b32_e32 v27, 16, v12
	v_fma_f16 v24, v34, v10, v24
	v_mul_f16_sdwa v10, v34, v10 dst_sel:DWORD dst_unused:UNUSED_PAD src0_sel:WORD_1 src1_sel:DWORD
	v_fma_f16 v10, v34, v25, -v10
	v_mul_f16_sdwa v25, v35, v27 dst_sel:DWORD dst_unused:UNUSED_PAD src0_sel:WORD_1 src1_sel:DWORD
	v_lshrrev_b32_e32 v28, 16, v11
	v_fma_f16 v25, v35, v12, v25
	v_mul_f16_sdwa v12, v35, v12 dst_sel:DWORD dst_unused:UNUSED_PAD src0_sel:WORD_1 src1_sel:DWORD
	v_fma_f16 v12, v35, v27, -v12
	v_mul_f16_sdwa v27, v36, v28 dst_sel:DWORD dst_unused:UNUSED_PAD src0_sel:WORD_1 src1_sel:DWORD
	v_lshrrev_b32_e32 v2, 16, v13
	v_fma_f16 v27, v36, v11, v27
	v_mul_f16_sdwa v11, v36, v11 dst_sel:DWORD dst_unused:UNUSED_PAD src0_sel:WORD_1 src1_sel:DWORD
	v_fma_f16 v11, v36, v28, -v11
	v_mul_f16_sdwa v28, v37, v2 dst_sel:DWORD dst_unused:UNUSED_PAD src0_sel:WORD_1 src1_sel:DWORD
	s_waitcnt lgkmcnt(1)
	v_lshrrev_b32_e32 v30, 16, v16
	v_fma_f16 v28, v37, v13, v28
	v_mul_f16_sdwa v13, v37, v13 dst_sel:DWORD dst_unused:UNUSED_PAD src0_sel:WORD_1 src1_sel:DWORD
	v_fma_f16 v2, v37, v2, -v13
	v_mul_f16_sdwa v13, v38, v30 dst_sel:DWORD dst_unused:UNUSED_PAD src0_sel:WORD_1 src1_sel:DWORD
	v_add_f16_e32 v37, v48, v24
	v_lshrrev_b32_e32 v23, 16, v0
	v_fma_f16 v13, v38, v16, v13
	v_mul_f16_sdwa v16, v38, v16 dst_sel:DWORD dst_unused:UNUSED_PAD src0_sel:WORD_1 src1_sel:DWORD
	v_add_f16_e32 v36, v0, v48
	v_fma_f16 v0, v37, -0.5, v0
	v_sub_f16_e32 v37, v9, v10
	s_mov_b32 s2, 0xbaee
	s_movk_i32 s3, 0x3aee
	s_waitcnt lgkmcnt(0)
	v_lshrrev_b32_e32 v43, 16, v18
	v_fma_f16 v16, v38, v30, -v16
	v_fma_f16 v38, v37, s2, v0
	v_fma_f16 v0, v37, s3, v0
	v_add_f16_e32 v37, v23, v9
	v_add_f16_e32 v9, v9, v10
	ds_read2_b32 v[14:15], v7 offset0:54 offset1:145
	v_mul_f16_sdwa v30, v39, v43 dst_sel:DWORD dst_unused:UNUSED_PAD src0_sel:WORD_1 src1_sel:DWORD
	v_add_f16_e32 v36, v36, v24
	v_add_f16_e32 v37, v37, v10
	v_fma_f16 v9, v9, -0.5, v23
	v_sub_f16_e32 v10, v48, v24
	v_add_f16_e32 v24, v25, v27
	v_lshrrev_b32_e32 v26, 16, v1
	v_fma_f16 v30, v39, v18, v30
	v_mul_f16_sdwa v18, v39, v18 dst_sel:DWORD dst_unused:UNUSED_PAD src0_sel:WORD_1 src1_sel:DWORD
	v_fma_f16 v23, v10, s3, v9
	v_fma_f16 v9, v10, s2, v9
	v_add_f16_e32 v10, v1, v25
	v_fma_f16 v1, v24, -0.5, v1
	v_sub_f16_e32 v24, v12, v11
	v_fma_f16 v18, v39, v43, -v18
	v_fma_f16 v39, v24, s2, v1
	v_fma_f16 v1, v24, s3, v1
	v_add_f16_e32 v24, v26, v12
	ds_read_b32 v32, v69 offset:5096
	v_add_f16_e32 v24, v24, v11
	v_add_f16_e32 v11, v12, v11
	v_lshrrev_b32_e32 v44, 16, v17
	v_fma_f16 v11, v11, -0.5, v26
	v_sub_f16_e32 v12, v25, v27
	v_add_f16_e32 v26, v28, v13
	s_waitcnt lgkmcnt(1)
	v_lshrrev_b32_e32 v29, 16, v14
	v_mul_f16_sdwa v33, v40, v44 dst_sel:DWORD dst_unused:UNUSED_PAD src0_sel:WORD_1 src1_sel:DWORD
	v_fma_f16 v25, v12, s3, v11
	v_fma_f16 v11, v12, s2, v11
	v_add_f16_e32 v12, v14, v28
	v_fma_f16 v14, v26, -0.5, v14
	v_sub_f16_e32 v26, v2, v16
	v_fma_f16 v33, v40, v17, v33
	v_mul_f16_sdwa v17, v40, v17 dst_sel:DWORD dst_unused:UNUSED_PAD src0_sel:WORD_1 src1_sel:DWORD
	v_add_f16_e32 v10, v10, v27
	v_fma_f16 v27, v26, s2, v14
	v_fma_f16 v14, v26, s3, v14
	v_add_f16_e32 v26, v29, v2
	v_add_f16_e32 v2, v2, v16
	v_fma_f16 v17, v40, v44, -v17
	v_add_f16_e32 v12, v12, v13
	v_fma_f16 v2, v2, -0.5, v29
	v_sub_f16_e32 v13, v28, v13
	v_add_f16_e32 v28, v30, v33
	v_lshrrev_b32_e32 v31, 16, v15
	v_lshrrev_b32_e32 v46, 16, v19
	s_waitcnt lgkmcnt(0)
	v_lshrrev_b32_e32 v47, 16, v32
	v_add_f16_e32 v26, v26, v16
	v_fma_f16 v16, v13, s3, v2
	v_fma_f16 v2, v13, s2, v2
	v_add_f16_e32 v13, v15, v30
	v_fma_f16 v15, v28, -0.5, v15
	v_sub_f16_e32 v28, v18, v17
	v_mul_f16_sdwa v34, v41, v46 dst_sel:DWORD dst_unused:UNUSED_PAD src0_sel:WORD_1 src1_sel:DWORD
	v_mul_f16_sdwa v35, v42, v47 dst_sel:DWORD dst_unused:UNUSED_PAD src0_sel:WORD_1 src1_sel:DWORD
	v_fma_f16 v29, v28, s2, v15
	v_fma_f16 v15, v28, s3, v15
	v_add_f16_e32 v28, v31, v18
	v_fma_f16 v34, v41, v19, v34
	v_mul_f16_sdwa v19, v41, v19 dst_sel:DWORD dst_unused:UNUSED_PAD src0_sel:WORD_1 src1_sel:DWORD
	v_fma_f16 v35, v42, v32, v35
	v_mul_f16_sdwa v32, v42, v32 dst_sel:DWORD dst_unused:UNUSED_PAD src0_sel:WORD_1 src1_sel:DWORD
	v_add_f16_e32 v28, v28, v17
	v_add_f16_e32 v17, v18, v17
	v_fma_f16 v19, v41, v46, -v19
	v_fma_f16 v32, v42, v47, -v32
	v_fma_f16 v17, v17, -0.5, v31
	v_sub_f16_e32 v18, v30, v33
	v_add_f16_e32 v31, v34, v35
	v_lshrrev_b32_e32 v45, 16, v8
	v_fma_f16 v30, v18, s3, v17
	v_fma_f16 v17, v18, s2, v17
	v_add_f16_e32 v18, v8, v34
	v_fma_f16 v8, v31, -0.5, v8
	v_sub_f16_e32 v31, v19, v32
	v_add_f16_e32 v13, v13, v33
	v_fma_f16 v33, v31, s2, v8
	v_fma_f16 v8, v31, s3, v8
	v_add_f16_e32 v31, v45, v19
	v_add_f16_e32 v19, v19, v32
	;; [unrolled: 1-line block ×3, first 2 shown]
	v_fma_f16 v19, v19, -0.5, v45
	v_sub_f16_e32 v32, v34, v35
	v_fma_f16 v34, v32, s3, v19
	v_fma_f16 v19, v32, s2, v19
	v_pack_b32_f16 v32, v36, v37
	v_pack_b32_f16 v23, v38, v23
	;; [unrolled: 1-line block ×5, first 2 shown]
	v_add_u32_e32 v24, 0x600, v85
	ds_write_b32 v69, v32
	ds_write2_b32 v24, v23, v10 offset0:71 offset1:162
	v_pack_b32_f16 v1, v1, v11
	v_add_u32_e32 v10, 0xc00, v85
	ds_write2_b32 v10, v0, v1 offset0:142 offset1:233
	v_pack_b32_f16 v0, v12, v26
	ds_write2_b32 v85, v9, v0 offset0:91 offset1:182
	v_pack_b32_f16 v0, v27, v16
	ds_write_b32 v61, v0 offset:1820
	v_pack_b32_f16 v0, v14, v2
	ds_write_b32 v61, v0 offset:3640
	;; [unrolled: 2-line block ×3, first 2 shown]
	v_pack_b32_f16 v0, v29, v30
	v_add_f16_e32 v18, v18, v35
	ds_write_b32 v60, v0 offset:1820
	v_pack_b32_f16 v0, v15, v17
	ds_write_b32 v60, v0 offset:3640
	v_pack_b32_f16 v0, v18, v31
	;; [unrolled: 2-line block ×4, first 2 shown]
	ds_write_b32 v59, v0 offset:3640
	s_waitcnt lgkmcnt(0)
	s_barrier
	ds_read2_b32 v[0:1], v69 offset1:105
	s_mov_b32 s12, 0x18018018
	s_mov_b32 s13, 0x3f480180
	v_mad_u64_u32 v[8:9], s[2:3], s10, v22, 0
	s_waitcnt lgkmcnt(0)
	v_lshrrev_b32_e32 v14, 16, v0
	v_mul_f16_sdwa v2, v83, v14 dst_sel:DWORD dst_unused:UNUSED_PAD src0_sel:WORD_1 src1_sel:DWORD
	v_fma_f16 v2, v83, v0, v2
	v_cvt_f32_f16_e32 v2, v2
	s_movk_i32 s15, 0x1ff
	s_movk_i32 s10, 0xffe
	v_mul_f16_sdwa v0, v83, v0 dst_sel:DWORD dst_unused:UNUSED_PAD src0_sel:WORD_1 src1_sel:DWORD
	v_cvt_f64_f32_e32 v[10:11], v2
	v_mov_b32_e32 v2, v9
	v_mad_u64_u32 v[12:13], s[2:3], s11, v22, v[2:3]
	v_mul_f64 v[10:11], v[10:11], s[12:13]
	v_fma_f16 v0, v83, v14, -v0
	v_mov_b32_e32 v9, v12
	v_cvt_f32_f16_e32 v0, v0
	s_movk_i32 s11, 0x40f
	s_mov_b32 s14, 0x8000
	v_lshlrev_b64 v[8:9], 2, v[8:9]
	s_movk_i32 s16, 0x1000
	v_and_or_b32 v2, v11, s15, v10
	v_cmp_ne_u32_e32 vcc, 0, v2
	v_cndmask_b32_e64 v2, 0, 1, vcc
	v_lshrrev_b32_e32 v10, 8, v11
	v_bfe_u32 v12, v11, 20, 11
	v_and_or_b32 v10, v10, s10, v2
	v_sub_u32_e32 v13, 0x3f1, v12
	v_or_b32_e32 v2, 0x1000, v10
	v_med3_i32 v13, v13, 0, 13
	v_lshrrev_b32_e32 v15, v13, v2
	v_lshlrev_b32_e32 v13, v13, v15
	v_cmp_ne_u32_e32 vcc, v13, v2
	v_cndmask_b32_e64 v2, 0, 1, vcc
	v_or_b32_e32 v2, v15, v2
	v_add_u32_e32 v15, 0xfffffc10, v12
	v_lshl_or_b32 v12, v15, 12, v10
	v_cmp_gt_i32_e32 vcc, 1, v15
	v_cndmask_b32_e32 v2, v12, v2, vcc
	v_and_b32_e32 v12, 7, v2
	v_cmp_lt_i32_e32 vcc, 5, v12
	v_cmp_eq_u32_e64 s[2:3], 3, v12
	v_cvt_f64_f32_e32 v[12:13], v0
	v_lshrrev_b32_e32 v2, 2, v2
	s_or_b64 vcc, s[2:3], vcc
	v_addc_co_u32_e32 v14, vcc, 0, v2, vcc
	v_mul_f64 v[12:13], v[12:13], s[12:13]
	v_mov_b32_e32 v2, 0x7c00
	v_cmp_gt_i32_e32 vcc, 31, v15
	v_cndmask_b32_e32 v0, v2, v14, vcc
	v_cmp_ne_u32_e32 vcc, 0, v10
	v_cndmask_b32_e64 v10, 0, 1, vcc
	v_lshl_or_b32 v10, v10, 9, v2
	v_cmp_eq_u32_e32 vcc, s11, v15
	v_cndmask_b32_e32 v0, v0, v10, vcc
	v_lshrrev_b32_e32 v10, 16, v11
	v_and_or_b32 v14, v10, s14, v0
	v_and_or_b32 v0, v13, s15, v12
	v_cmp_ne_u32_e32 vcc, 0, v0
	v_cndmask_b32_e64 v0, 0, 1, vcc
	v_lshrrev_b32_e32 v10, 8, v13
	v_bfe_u32 v11, v13, 20, 11
	v_and_or_b32 v0, v10, s10, v0
	v_sub_u32_e32 v12, 0x3f1, v11
	v_or_b32_e32 v10, 0x1000, v0
	v_med3_i32 v12, v12, 0, 13
	v_lshrrev_b32_e32 v15, v12, v10
	v_lshlrev_b32_e32 v12, v12, v15
	v_cmp_ne_u32_e32 vcc, v12, v10
	v_cndmask_b32_e64 v10, 0, 1, vcc
	v_add_u32_e32 v12, 0xfffffc10, v11
	v_or_b32_e32 v10, v15, v10
	v_lshl_or_b32 v11, v12, 12, v0
	v_cmp_gt_i32_e32 vcc, 1, v12
	v_cndmask_b32_e32 v10, v11, v10, vcc
	v_and_b32_e32 v11, 7, v10
	v_cmp_lt_i32_e32 vcc, 5, v11
	v_cmp_eq_u32_e64 s[2:3], 3, v11
	v_lshrrev_b32_e32 v10, 2, v10
	s_or_b64 vcc, s[2:3], vcc
	v_addc_co_u32_e32 v10, vcc, 0, v10, vcc
	v_cmp_gt_i32_e32 vcc, 31, v12
	v_cndmask_b32_e32 v15, v2, v10, vcc
	v_mad_u64_u32 v[10:11], s[2:3], s8, v81, 0
	v_cmp_ne_u32_e32 vcc, 0, v0
	v_cndmask_b32_e64 v0, 0, 1, vcc
	v_lshl_or_b32 v0, v0, 9, v2
	v_cmp_eq_u32_e32 vcc, s11, v12
	v_cndmask_b32_e32 v15, v15, v0, vcc
	v_mov_b32_e32 v0, v11
	v_mad_u64_u32 v[11:12], s[2:3], s9, v81, v[0:1]
	v_lshrrev_b32_e32 v0, 16, v1
	v_mul_f16_sdwa v12, v82, v0 dst_sel:DWORD dst_unused:UNUSED_PAD src0_sel:WORD_1 src1_sel:DWORD
	v_fma_f16 v12, v82, v1, v12
	v_cvt_f32_f16_e32 v12, v12
	v_lshrrev_b32_e32 v13, 16, v13
	v_and_or_b32 v15, v13, s14, v15
	v_and_b32_e32 v14, 0xffff, v14
	v_cvt_f64_f32_e32 v[12:13], v12
	v_lshl_or_b32 v14, v15, 16, v14
	v_mov_b32_e32 v15, s7
	v_add_co_u32_e32 v16, vcc, s6, v8
	v_mul_f64 v[12:13], v[12:13], s[12:13]
	v_addc_co_u32_e32 v15, vcc, v15, v9, vcc
	v_lshlrev_b64 v[8:9], 2, v[10:11]
	v_mul_f16_sdwa v1, v82, v1 dst_sel:DWORD dst_unused:UNUSED_PAD src0_sel:WORD_1 src1_sel:DWORD
	v_add_co_u32_e32 v8, vcc, v16, v8
	v_addc_co_u32_e32 v9, vcc, v15, v9, vcc
	v_and_or_b32 v10, v13, s15, v12
	v_cmp_ne_u32_e32 vcc, 0, v10
	v_fma_f16 v0, v82, v0, -v1
	v_cndmask_b32_e64 v10, 0, 1, vcc
	v_lshrrev_b32_e32 v11, 8, v13
	v_bfe_u32 v12, v13, 20, 11
	v_cvt_f32_f16_e32 v0, v0
	global_store_dword v[8:9], v14, off
	v_and_or_b32 v10, v11, s10, v10
	v_sub_u32_e32 v14, 0x3f1, v12
	v_or_b32_e32 v11, 0x1000, v10
	v_med3_i32 v14, v14, 0, 13
	v_lshrrev_b32_e32 v15, v14, v11
	v_lshlrev_b32_e32 v14, v14, v15
	v_cvt_f64_f32_e32 v[0:1], v0
	v_cmp_ne_u32_e32 vcc, v14, v11
	v_cndmask_b32_e64 v11, 0, 1, vcc
	v_add_u32_e32 v12, 0xfffffc10, v12
	v_or_b32_e32 v11, v15, v11
	v_lshl_or_b32 v14, v12, 12, v10
	v_cmp_gt_i32_e32 vcc, 1, v12
	v_cndmask_b32_e32 v11, v14, v11, vcc
	v_mul_f64 v[0:1], v[0:1], s[12:13]
	v_and_b32_e32 v14, 7, v11
	v_cmp_lt_i32_e32 vcc, 5, v14
	v_cmp_eq_u32_e64 s[2:3], 3, v14
	v_lshrrev_b32_e32 v11, 2, v11
	s_or_b64 vcc, s[2:3], vcc
	v_addc_co_u32_e32 v11, vcc, 0, v11, vcc
	v_cmp_gt_i32_e32 vcc, 31, v12
	v_cndmask_b32_e32 v11, v2, v11, vcc
	v_cmp_ne_u32_e32 vcc, 0, v10
	v_cndmask_b32_e64 v10, 0, 1, vcc
	v_lshl_or_b32 v10, v10, 9, v2
	v_cmp_eq_u32_e32 vcc, s11, v12
	v_and_or_b32 v0, v1, s15, v0
	v_cndmask_b32_e32 v10, v11, v10, vcc
	v_lshrrev_b32_e32 v11, 16, v13
	v_cmp_ne_u32_e32 vcc, 0, v0
	v_and_or_b32 v12, v11, s14, v10
	v_cndmask_b32_e64 v0, 0, 1, vcc
	v_lshrrev_b32_e32 v10, 8, v1
	v_bfe_u32 v11, v1, 20, 11
	v_and_or_b32 v0, v10, s10, v0
	v_sub_u32_e32 v13, 0x3f1, v11
	v_or_b32_e32 v10, 0x1000, v0
	v_med3_i32 v13, v13, 0, 13
	v_lshrrev_b32_e32 v14, v13, v10
	v_lshlrev_b32_e32 v13, v13, v14
	v_cmp_ne_u32_e32 vcc, v13, v10
	v_cndmask_b32_e64 v10, 0, 1, vcc
	v_add_u32_e32 v13, 0xfffffc10, v11
	v_or_b32_e32 v10, v14, v10
	v_lshl_or_b32 v11, v13, 12, v0
	v_cmp_gt_i32_e32 vcc, 1, v13
	v_cndmask_b32_e32 v10, v11, v10, vcc
	v_and_b32_e32 v11, 7, v10
	v_cmp_lt_i32_e32 vcc, 5, v11
	v_cmp_eq_u32_e64 s[2:3], 3, v11
	v_lshrrev_b32_e32 v10, 2, v10
	s_or_b64 vcc, s[2:3], vcc
	v_addc_co_u32_e32 v10, vcc, 0, v10, vcc
	v_cmp_gt_i32_e32 vcc, 31, v13
	v_cndmask_b32_e32 v14, v2, v10, vcc
	ds_read2_b32 v[10:11], v7 offset0:82 offset1:187
	v_cmp_ne_u32_e32 vcc, 0, v0
	v_cndmask_b32_e64 v0, 0, 1, vcc
	v_lshl_or_b32 v0, v0, 9, v2
	v_cmp_eq_u32_e32 vcc, s11, v13
	v_cndmask_b32_e32 v0, v14, v0, vcc
	v_lshrrev_b32_e32 v1, 16, v1
	s_waitcnt lgkmcnt(0)
	v_lshrrev_b32_e32 v14, 16, v10
	v_and_or_b32 v13, v1, s14, v0
	v_mul_f16_sdwa v0, v80, v14 dst_sel:DWORD dst_unused:UNUSED_PAD src0_sel:WORD_1 src1_sel:DWORD
	v_fma_f16 v0, v80, v10, v0
	v_cvt_f32_f16_e32 v0, v0
	v_and_b32_e32 v12, 0xffff, v12
	v_lshl_or_b32 v15, v13, 16, v12
	s_mul_i32 s2, s9, 0x69
	v_cvt_f64_f32_e32 v[0:1], v0
	s_mul_hi_u32 s3, s8, 0x69
	s_add_i32 s3, s3, s2
	s_mul_i32 s2, s8, 0x69
	v_mul_f64 v[12:13], v[0:1], s[12:13]
	s_lshl_b64 s[6:7], s[2:3], 2
	v_mov_b32_e32 v1, s7
	v_add_co_u32_e32 v8, vcc, s6, v8
	v_addc_co_u32_e32 v9, vcc, v9, v1, vcc
	global_store_dword v[8:9], v15, off
	v_and_or_b32 v0, v13, s15, v12
	v_cmp_ne_u32_e32 vcc, 0, v0
	v_cndmask_b32_e64 v0, 0, 1, vcc
	v_lshrrev_b32_e32 v12, 8, v13
	v_bfe_u32 v15, v13, 20, 11
	v_and_or_b32 v0, v12, s10, v0
	v_sub_u32_e32 v16, 0x3f1, v15
	v_or_b32_e32 v12, 0x1000, v0
	v_med3_i32 v16, v16, 0, 13
	v_lshrrev_b32_e32 v17, v16, v12
	v_lshlrev_b32_e32 v16, v16, v17
	v_mul_f16_sdwa v10, v80, v10 dst_sel:DWORD dst_unused:UNUSED_PAD src0_sel:WORD_1 src1_sel:DWORD
	v_cmp_ne_u32_e32 vcc, v16, v12
	v_fma_f16 v10, v80, v14, -v10
	v_cndmask_b32_e64 v12, 0, 1, vcc
	v_add_u32_e32 v16, 0xfffffc10, v15
	v_cvt_f32_f16_e32 v10, v10
	v_or_b32_e32 v12, v17, v12
	v_lshl_or_b32 v15, v16, 12, v0
	v_cmp_gt_i32_e32 vcc, 1, v16
	v_cndmask_b32_e32 v12, v15, v12, vcc
	v_and_b32_e32 v15, 7, v12
	v_cmp_lt_i32_e32 vcc, 5, v15
	v_cmp_eq_u32_e64 s[2:3], 3, v15
	v_cvt_f64_f32_e32 v[14:15], v10
	v_lshrrev_b32_e32 v12, 2, v12
	s_or_b64 vcc, s[2:3], vcc
	v_addc_co_u32_e32 v10, vcc, 0, v12, vcc
	v_mul_f64 v[14:15], v[14:15], s[12:13]
	v_cmp_gt_i32_e32 vcc, 31, v16
	v_cndmask_b32_e32 v10, v2, v10, vcc
	v_cmp_ne_u32_e32 vcc, 0, v0
	v_cndmask_b32_e64 v0, 0, 1, vcc
	v_lshl_or_b32 v0, v0, 9, v2
	v_cmp_eq_u32_e32 vcc, s11, v16
	v_cndmask_b32_e32 v0, v10, v0, vcc
	v_lshrrev_b32_e32 v10, 16, v13
	v_and_or_b32 v0, v10, s14, v0
	v_and_or_b32 v10, v15, s15, v14
	v_cmp_ne_u32_e32 vcc, 0, v10
	v_cndmask_b32_e64 v10, 0, 1, vcc
	v_lshrrev_b32_e32 v12, 8, v15
	v_bfe_u32 v13, v15, 20, 11
	v_and_or_b32 v10, v12, s10, v10
	v_sub_u32_e32 v14, 0x3f1, v13
	v_or_b32_e32 v12, 0x1000, v10
	v_med3_i32 v14, v14, 0, 13
	v_lshrrev_b32_e32 v16, v14, v12
	v_lshlrev_b32_e32 v14, v14, v16
	v_cmp_ne_u32_e32 vcc, v14, v12
	v_cndmask_b32_e64 v12, 0, 1, vcc
	v_add_u32_e32 v14, 0xfffffc10, v13
	v_or_b32_e32 v12, v16, v12
	v_lshl_or_b32 v13, v14, 12, v10
	v_cmp_gt_i32_e32 vcc, 1, v14
	v_cndmask_b32_e32 v12, v13, v12, vcc
	v_and_b32_e32 v13, 7, v12
	v_cmp_lt_i32_e32 vcc, 5, v13
	v_cmp_eq_u32_e64 s[2:3], 3, v13
	v_lshrrev_b32_e32 v12, 2, v12
	s_or_b64 vcc, s[2:3], vcc
	v_addc_co_u32_e32 v12, vcc, 0, v12, vcc
	v_cmp_gt_i32_e32 vcc, 31, v14
	v_lshrrev_b32_e32 v17, 16, v11
	v_cndmask_b32_e32 v16, v2, v12, vcc
	v_mul_f16_sdwa v12, v79, v17 dst_sel:DWORD dst_unused:UNUSED_PAD src0_sel:WORD_1 src1_sel:DWORD
	v_fma_f16 v12, v79, v11, v12
	v_cvt_f32_f16_e32 v12, v12
	v_cmp_ne_u32_e32 vcc, 0, v10
	v_cndmask_b32_e64 v10, 0, 1, vcc
	v_lshl_or_b32 v10, v10, 9, v2
	v_cvt_f64_f32_e32 v[12:13], v12
	v_cmp_eq_u32_e32 vcc, s11, v14
	v_cndmask_b32_e32 v10, v16, v10, vcc
	v_lshrrev_b32_e32 v14, 16, v15
	v_mul_f64 v[12:13], v[12:13], s[12:13]
	v_and_or_b32 v10, v14, s14, v10
	v_and_b32_e32 v0, 0xffff, v0
	v_add_co_u32_e32 v8, vcc, s6, v8
	v_lshl_or_b32 v0, v10, 16, v0
	v_addc_co_u32_e32 v9, vcc, v9, v1, vcc
	global_store_dword v[8:9], v0, off
	v_and_or_b32 v0, v13, s15, v12
	v_cmp_ne_u32_e32 vcc, 0, v0
	v_cndmask_b32_e64 v0, 0, 1, vcc
	v_lshrrev_b32_e32 v10, 8, v13
	v_bfe_u32 v12, v13, 20, 11
	v_and_or_b32 v0, v10, s10, v0
	v_sub_u32_e32 v14, 0x3f1, v12
	v_or_b32_e32 v10, 0x1000, v0
	v_med3_i32 v14, v14, 0, 13
	v_lshrrev_b32_e32 v15, v14, v10
	v_lshlrev_b32_e32 v14, v14, v15
	v_mul_f16_sdwa v11, v79, v11 dst_sel:DWORD dst_unused:UNUSED_PAD src0_sel:WORD_1 src1_sel:DWORD
	v_cmp_ne_u32_e32 vcc, v14, v10
	v_fma_f16 v11, v79, v17, -v11
	v_cndmask_b32_e64 v10, 0, 1, vcc
	v_add_u32_e32 v12, 0xfffffc10, v12
	v_cvt_f32_f16_e32 v11, v11
	v_or_b32_e32 v10, v15, v10
	v_lshl_or_b32 v14, v12, 12, v0
	v_cmp_gt_i32_e32 vcc, 1, v12
	v_cndmask_b32_e32 v10, v14, v10, vcc
	v_and_b32_e32 v14, 7, v10
	v_cmp_lt_i32_e32 vcc, 5, v14
	v_cmp_eq_u32_e64 s[2:3], 3, v14
	v_lshrrev_b32_e32 v14, 2, v10
	v_cvt_f64_f32_e32 v[10:11], v11
	s_or_b64 vcc, s[2:3], vcc
	v_addc_co_u32_e32 v14, vcc, 0, v14, vcc
	v_mul_f64 v[10:11], v[10:11], s[12:13]
	v_cmp_gt_i32_e32 vcc, 31, v12
	v_cndmask_b32_e32 v14, v2, v14, vcc
	v_cmp_ne_u32_e32 vcc, 0, v0
	v_cndmask_b32_e64 v0, 0, 1, vcc
	v_lshl_or_b32 v0, v0, 9, v2
	v_cmp_eq_u32_e32 vcc, s11, v12
	v_cndmask_b32_e32 v0, v14, v0, vcc
	v_and_or_b32 v10, v11, s15, v10
	v_lshrrev_b32_e32 v12, 16, v13
	v_cmp_ne_u32_e32 vcc, 0, v10
	v_and_or_b32 v0, v12, s14, v0
	v_cndmask_b32_e64 v10, 0, 1, vcc
	v_lshrrev_b32_e32 v12, 8, v11
	v_bfe_u32 v13, v11, 20, 11
	v_and_or_b32 v10, v12, s10, v10
	v_sub_u32_e32 v14, 0x3f1, v13
	v_or_b32_e32 v12, 0x1000, v10
	v_med3_i32 v14, v14, 0, 13
	v_lshrrev_b32_e32 v15, v14, v12
	v_lshlrev_b32_e32 v14, v14, v15
	v_cmp_ne_u32_e32 vcc, v14, v12
	v_cndmask_b32_e64 v12, 0, 1, vcc
	v_add_u32_e32 v16, 0xfffffc10, v13
	v_or_b32_e32 v12, v15, v12
	v_lshl_or_b32 v13, v16, 12, v10
	v_cmp_gt_i32_e32 vcc, 1, v16
	v_cndmask_b32_e32 v12, v13, v12, vcc
	v_and_b32_e32 v13, 7, v12
	v_lshrrev_b32_e32 v14, 2, v12
	v_add_u32_e32 v12, 0x600, v69
	v_cmp_lt_i32_e32 vcc, 5, v13
	v_cmp_eq_u32_e64 s[2:3], 3, v13
	ds_read2_b32 v[12:13], v12 offset0:36 offset1:141
	s_or_b64 vcc, s[2:3], vcc
	v_addc_co_u32_e32 v14, vcc, 0, v14, vcc
	v_cmp_gt_i32_e32 vcc, 31, v16
	s_waitcnt lgkmcnt(0)
	v_lshrrev_b32_e32 v18, 16, v12
	v_cndmask_b32_e32 v17, v2, v14, vcc
	v_mul_f16_sdwa v14, v78, v18 dst_sel:DWORD dst_unused:UNUSED_PAD src0_sel:WORD_1 src1_sel:DWORD
	v_fma_f16 v14, v78, v12, v14
	v_cvt_f32_f16_e32 v14, v14
	v_cmp_ne_u32_e32 vcc, 0, v10
	v_cndmask_b32_e64 v10, 0, 1, vcc
	v_lshl_or_b32 v10, v10, 9, v2
	v_cvt_f64_f32_e32 v[14:15], v14
	v_cmp_eq_u32_e32 vcc, s11, v16
	v_cndmask_b32_e32 v10, v17, v10, vcc
	v_lshrrev_b32_e32 v11, 16, v11
	v_and_or_b32 v16, v11, s14, v10
	v_mul_f64 v[10:11], v[14:15], s[12:13]
	v_and_b32_e32 v0, 0xffff, v0
	v_add_co_u32_e32 v8, vcc, s6, v8
	v_lshl_or_b32 v0, v16, 16, v0
	v_addc_co_u32_e32 v9, vcc, v9, v1, vcc
	global_store_dword v[8:9], v0, off
	v_and_or_b32 v0, v11, s15, v10
	v_cmp_ne_u32_e32 vcc, 0, v0
	v_cndmask_b32_e64 v0, 0, 1, vcc
	v_lshrrev_b32_e32 v10, 8, v11
	v_bfe_u32 v14, v11, 20, 11
	v_and_or_b32 v0, v10, s10, v0
	v_sub_u32_e32 v15, 0x3f1, v14
	v_or_b32_e32 v10, 0x1000, v0
	v_med3_i32 v15, v15, 0, 13
	v_lshrrev_b32_e32 v16, v15, v10
	v_lshlrev_b32_e32 v15, v15, v16
	v_cmp_ne_u32_e32 vcc, v15, v10
	v_mul_f16_sdwa v12, v78, v12 dst_sel:DWORD dst_unused:UNUSED_PAD src0_sel:WORD_1 src1_sel:DWORD
	v_cndmask_b32_e64 v10, 0, 1, vcc
	v_fma_f16 v12, v78, v18, -v12
	v_or_b32_e32 v10, v16, v10
	v_add_u32_e32 v16, 0xfffffc10, v14
	v_cvt_f32_f16_e32 v12, v12
	v_lshl_or_b32 v14, v16, 12, v0
	v_cmp_gt_i32_e32 vcc, 1, v16
	v_cndmask_b32_e32 v10, v14, v10, vcc
	v_and_b32_e32 v14, 7, v10
	v_cmp_lt_i32_e32 vcc, 5, v14
	v_cmp_eq_u32_e64 s[2:3], 3, v14
	v_cvt_f64_f32_e32 v[14:15], v12
	v_lshrrev_b32_e32 v10, 2, v10
	s_or_b64 vcc, s[2:3], vcc
	v_addc_co_u32_e32 v10, vcc, 0, v10, vcc
	v_mul_f64 v[14:15], v[14:15], s[12:13]
	v_cmp_gt_i32_e32 vcc, 31, v16
	v_cndmask_b32_e32 v10, v2, v10, vcc
	v_cmp_ne_u32_e32 vcc, 0, v0
	v_cndmask_b32_e64 v0, 0, 1, vcc
	v_lshl_or_b32 v0, v0, 9, v2
	v_cmp_eq_u32_e32 vcc, s11, v16
	v_cndmask_b32_e32 v0, v10, v0, vcc
	v_lshrrev_b32_e32 v10, 16, v11
	v_and_or_b32 v0, v10, s14, v0
	v_and_or_b32 v10, v15, s15, v14
	v_cmp_ne_u32_e32 vcc, 0, v10
	v_cndmask_b32_e64 v10, 0, 1, vcc
	v_lshrrev_b32_e32 v11, 8, v15
	v_bfe_u32 v12, v15, 20, 11
	v_and_or_b32 v10, v11, s10, v10
	v_sub_u32_e32 v14, 0x3f1, v12
	v_or_b32_e32 v11, 0x1000, v10
	v_med3_i32 v14, v14, 0, 13
	v_lshrrev_b32_e32 v16, v14, v11
	v_lshlrev_b32_e32 v14, v14, v16
	v_cmp_ne_u32_e32 vcc, v14, v11
	v_cndmask_b32_e64 v11, 0, 1, vcc
	v_add_u32_e32 v12, 0xfffffc10, v12
	v_or_b32_e32 v11, v16, v11
	v_lshl_or_b32 v14, v12, 12, v10
	v_cmp_gt_i32_e32 vcc, 1, v12
	v_cndmask_b32_e32 v11, v14, v11, vcc
	v_and_b32_e32 v14, 7, v11
	v_cmp_lt_i32_e32 vcc, 5, v14
	v_cmp_eq_u32_e64 s[2:3], 3, v14
	v_lshrrev_b32_e32 v11, 2, v11
	s_or_b64 vcc, s[2:3], vcc
	v_addc_co_u32_e32 v11, vcc, 0, v11, vcc
	v_cmp_gt_i32_e32 vcc, 31, v12
	v_lshrrev_b32_e32 v16, 16, v13
	v_cndmask_b32_e32 v14, v2, v11, vcc
	v_mul_f16_sdwa v11, v77, v16 dst_sel:DWORD dst_unused:UNUSED_PAD src0_sel:WORD_1 src1_sel:DWORD
	v_fma_f16 v11, v77, v13, v11
	v_cvt_f32_f16_e32 v11, v11
	v_cmp_ne_u32_e32 vcc, 0, v10
	v_cndmask_b32_e64 v10, 0, 1, vcc
	v_lshl_or_b32 v17, v10, 9, v2
	v_cvt_f64_f32_e32 v[10:11], v11
	v_cmp_eq_u32_e32 vcc, s11, v12
	v_cndmask_b32_e32 v12, v14, v17, vcc
	v_lshrrev_b32_e32 v14, 16, v15
	v_mul_f64 v[10:11], v[10:11], s[12:13]
	v_and_or_b32 v12, v14, s14, v12
	v_and_b32_e32 v0, 0xffff, v0
	v_add_co_u32_e32 v8, vcc, s6, v8
	v_lshl_or_b32 v0, v12, 16, v0
	v_addc_co_u32_e32 v9, vcc, v9, v1, vcc
	global_store_dword v[8:9], v0, off
	v_and_or_b32 v0, v11, s15, v10
	v_cmp_ne_u32_e32 vcc, 0, v0
	v_cndmask_b32_e64 v0, 0, 1, vcc
	v_lshrrev_b32_e32 v10, 8, v11
	v_bfe_u32 v12, v11, 20, 11
	v_and_or_b32 v0, v10, s10, v0
	v_sub_u32_e32 v14, 0x3f1, v12
	v_or_b32_e32 v10, 0x1000, v0
	v_med3_i32 v14, v14, 0, 13
	v_lshrrev_b32_e32 v15, v14, v10
	v_lshlrev_b32_e32 v14, v14, v15
	v_mul_f16_sdwa v13, v77, v13 dst_sel:DWORD dst_unused:UNUSED_PAD src0_sel:WORD_1 src1_sel:DWORD
	v_cmp_ne_u32_e32 vcc, v14, v10
	v_fma_f16 v13, v77, v16, -v13
	v_cndmask_b32_e64 v10, 0, 1, vcc
	v_add_u32_e32 v14, 0xfffffc10, v12
	v_cvt_f32_f16_e32 v13, v13
	v_or_b32_e32 v10, v15, v10
	v_lshl_or_b32 v12, v14, 12, v0
	v_cmp_gt_i32_e32 vcc, 1, v14
	v_cndmask_b32_e32 v10, v12, v10, vcc
	v_and_b32_e32 v12, 7, v10
	v_cmp_lt_i32_e32 vcc, 5, v12
	v_cmp_eq_u32_e64 s[2:3], 3, v12
	v_cvt_f64_f32_e32 v[12:13], v13
	v_lshrrev_b32_e32 v10, 2, v10
	s_or_b64 vcc, s[2:3], vcc
	v_addc_co_u32_e32 v10, vcc, 0, v10, vcc
	v_mul_f64 v[12:13], v[12:13], s[12:13]
	v_cmp_gt_i32_e32 vcc, 31, v14
	v_cndmask_b32_e32 v10, v2, v10, vcc
	v_cmp_ne_u32_e32 vcc, 0, v0
	v_cndmask_b32_e64 v0, 0, 1, vcc
	v_lshl_or_b32 v0, v0, 9, v2
	v_cmp_eq_u32_e32 vcc, s11, v14
	v_cndmask_b32_e32 v0, v10, v0, vcc
	v_lshrrev_b32_e32 v10, 16, v11
	v_and_or_b32 v0, v10, s14, v0
	v_and_or_b32 v10, v13, s15, v12
	v_cmp_ne_u32_e32 vcc, 0, v10
	v_cndmask_b32_e64 v10, 0, 1, vcc
	v_lshrrev_b32_e32 v11, 8, v13
	v_and_or_b32 v12, v11, s10, v10
	v_bfe_u32 v11, v13, 20, 11
	v_sub_u32_e32 v14, 0x3f1, v11
	v_or_b32_e32 v10, 0x1000, v12
	v_med3_i32 v14, v14, 0, 13
	v_lshrrev_b32_e32 v15, v14, v10
	v_lshlrev_b32_e32 v14, v14, v15
	v_cmp_ne_u32_e32 vcc, v14, v10
	v_cndmask_b32_e64 v10, 0, 1, vcc
	v_add_u32_e32 v16, 0xfffffc10, v11
	v_or_b32_e32 v10, v15, v10
	v_lshl_or_b32 v11, v16, 12, v12
	v_cmp_gt_i32_e32 vcc, 1, v16
	v_cndmask_b32_e32 v10, v11, v10, vcc
	v_and_b32_e32 v11, 7, v10
	v_cmp_lt_i32_e32 vcc, 5, v11
	v_cmp_eq_u32_e64 s[2:3], 3, v11
	v_lshrrev_b32_e32 v14, 2, v10
	ds_read2_b32 v[10:11], v5 offset0:118 offset1:223
	s_or_b64 vcc, s[2:3], vcc
	v_addc_co_u32_e32 v14, vcc, 0, v14, vcc
	v_cmp_gt_i32_e32 vcc, 31, v16
	s_waitcnt lgkmcnt(0)
	v_lshrrev_b32_e32 v18, 16, v10
	v_cndmask_b32_e32 v17, v2, v14, vcc
	v_mul_f16_sdwa v14, v76, v18 dst_sel:DWORD dst_unused:UNUSED_PAD src0_sel:WORD_1 src1_sel:DWORD
	v_fma_f16 v14, v76, v10, v14
	v_cvt_f32_f16_e32 v14, v14
	v_cmp_ne_u32_e32 vcc, 0, v12
	v_cndmask_b32_e64 v12, 0, 1, vcc
	v_lshl_or_b32 v12, v12, 9, v2
	v_cvt_f64_f32_e32 v[14:15], v14
	v_cmp_eq_u32_e32 vcc, s11, v16
	v_cndmask_b32_e32 v12, v17, v12, vcc
	v_lshrrev_b32_e32 v13, 16, v13
	v_and_or_b32 v16, v13, s14, v12
	v_mul_f64 v[12:13], v[14:15], s[12:13]
	v_and_b32_e32 v0, 0xffff, v0
	v_add_co_u32_e32 v8, vcc, s6, v8
	v_lshl_or_b32 v0, v16, 16, v0
	v_addc_co_u32_e32 v9, vcc, v9, v1, vcc
	global_store_dword v[8:9], v0, off
	v_and_or_b32 v0, v13, s15, v12
	v_cmp_ne_u32_e32 vcc, 0, v0
	v_cndmask_b32_e64 v0, 0, 1, vcc
	v_lshrrev_b32_e32 v12, 8, v13
	v_bfe_u32 v14, v13, 20, 11
	v_and_or_b32 v0, v12, s10, v0
	v_sub_u32_e32 v15, 0x3f1, v14
	v_or_b32_e32 v12, 0x1000, v0
	v_med3_i32 v15, v15, 0, 13
	v_lshrrev_b32_e32 v16, v15, v12
	v_lshlrev_b32_e32 v15, v15, v16
	v_cmp_ne_u32_e32 vcc, v15, v12
	v_mul_f16_sdwa v10, v76, v10 dst_sel:DWORD dst_unused:UNUSED_PAD src0_sel:WORD_1 src1_sel:DWORD
	v_cndmask_b32_e64 v12, 0, 1, vcc
	v_fma_f16 v10, v76, v18, -v10
	v_or_b32_e32 v12, v16, v12
	v_add_u32_e32 v16, 0xfffffc10, v14
	v_cvt_f32_f16_e32 v10, v10
	v_lshl_or_b32 v14, v16, 12, v0
	v_cmp_gt_i32_e32 vcc, 1, v16
	v_cndmask_b32_e32 v12, v14, v12, vcc
	v_and_b32_e32 v14, 7, v12
	v_cmp_lt_i32_e32 vcc, 5, v14
	v_cmp_eq_u32_e64 s[2:3], 3, v14
	v_cvt_f64_f32_e32 v[14:15], v10
	v_lshrrev_b32_e32 v12, 2, v12
	s_or_b64 vcc, s[2:3], vcc
	v_addc_co_u32_e32 v10, vcc, 0, v12, vcc
	v_mul_f64 v[14:15], v[14:15], s[12:13]
	v_cmp_gt_i32_e32 vcc, 31, v16
	v_cndmask_b32_e32 v10, v2, v10, vcc
	v_cmp_ne_u32_e32 vcc, 0, v0
	v_cndmask_b32_e64 v0, 0, 1, vcc
	v_lshl_or_b32 v0, v0, 9, v2
	v_cmp_eq_u32_e32 vcc, s11, v16
	v_cndmask_b32_e32 v0, v10, v0, vcc
	v_lshrrev_b32_e32 v10, 16, v13
	v_and_or_b32 v0, v10, s14, v0
	v_and_or_b32 v10, v15, s15, v14
	v_cmp_ne_u32_e32 vcc, 0, v10
	v_cndmask_b32_e64 v10, 0, 1, vcc
	v_lshrrev_b32_e32 v12, 8, v15
	v_bfe_u32 v13, v15, 20, 11
	v_and_or_b32 v10, v12, s10, v10
	v_sub_u32_e32 v14, 0x3f1, v13
	v_or_b32_e32 v12, 0x1000, v10
	v_med3_i32 v14, v14, 0, 13
	v_lshrrev_b32_e32 v16, v14, v12
	v_lshlrev_b32_e32 v14, v14, v16
	v_cmp_ne_u32_e32 vcc, v14, v12
	v_cndmask_b32_e64 v12, 0, 1, vcc
	v_add_u32_e32 v14, 0xfffffc10, v13
	v_or_b32_e32 v12, v16, v12
	v_lshl_or_b32 v13, v14, 12, v10
	v_cmp_gt_i32_e32 vcc, 1, v14
	v_cndmask_b32_e32 v12, v13, v12, vcc
	v_and_b32_e32 v13, 7, v12
	v_cmp_lt_i32_e32 vcc, 5, v13
	v_cmp_eq_u32_e64 s[2:3], 3, v13
	v_lshrrev_b32_e32 v12, 2, v12
	s_or_b64 vcc, s[2:3], vcc
	v_addc_co_u32_e32 v12, vcc, 0, v12, vcc
	v_cmp_gt_i32_e32 vcc, 31, v14
	v_lshrrev_b32_e32 v17, 16, v11
	v_cndmask_b32_e32 v16, v2, v12, vcc
	v_mul_f16_sdwa v12, v75, v17 dst_sel:DWORD dst_unused:UNUSED_PAD src0_sel:WORD_1 src1_sel:DWORD
	v_fma_f16 v12, v75, v11, v12
	v_cvt_f32_f16_e32 v12, v12
	v_cmp_ne_u32_e32 vcc, 0, v10
	v_cndmask_b32_e64 v10, 0, 1, vcc
	v_lshl_or_b32 v10, v10, 9, v2
	v_cvt_f64_f32_e32 v[12:13], v12
	v_cmp_eq_u32_e32 vcc, s11, v14
	v_cndmask_b32_e32 v10, v16, v10, vcc
	v_lshrrev_b32_e32 v14, 16, v15
	v_mul_f64 v[12:13], v[12:13], s[12:13]
	v_and_or_b32 v10, v14, s14, v10
	v_and_b32_e32 v0, 0xffff, v0
	v_add_co_u32_e32 v8, vcc, s6, v8
	v_lshl_or_b32 v0, v10, 16, v0
	v_addc_co_u32_e32 v9, vcc, v9, v1, vcc
	global_store_dword v[8:9], v0, off
	v_and_or_b32 v0, v13, s15, v12
	v_cmp_ne_u32_e32 vcc, 0, v0
	v_cndmask_b32_e64 v0, 0, 1, vcc
	v_lshrrev_b32_e32 v10, 8, v13
	v_bfe_u32 v12, v13, 20, 11
	v_and_or_b32 v0, v10, s10, v0
	v_sub_u32_e32 v14, 0x3f1, v12
	v_or_b32_e32 v10, 0x1000, v0
	v_med3_i32 v14, v14, 0, 13
	v_lshrrev_b32_e32 v15, v14, v10
	v_lshlrev_b32_e32 v14, v14, v15
	v_mul_f16_sdwa v11, v75, v11 dst_sel:DWORD dst_unused:UNUSED_PAD src0_sel:WORD_1 src1_sel:DWORD
	v_cmp_ne_u32_e32 vcc, v14, v10
	v_fma_f16 v11, v75, v17, -v11
	v_cndmask_b32_e64 v10, 0, 1, vcc
	v_add_u32_e32 v12, 0xfffffc10, v12
	v_cvt_f32_f16_e32 v11, v11
	v_or_b32_e32 v10, v15, v10
	v_lshl_or_b32 v14, v12, 12, v0
	v_cmp_gt_i32_e32 vcc, 1, v12
	v_cndmask_b32_e32 v10, v14, v10, vcc
	v_and_b32_e32 v14, 7, v10
	v_cmp_lt_i32_e32 vcc, 5, v14
	v_cmp_eq_u32_e64 s[2:3], 3, v14
	v_lshrrev_b32_e32 v14, 2, v10
	v_cvt_f64_f32_e32 v[10:11], v11
	s_or_b64 vcc, s[2:3], vcc
	v_addc_co_u32_e32 v14, vcc, 0, v14, vcc
	v_mul_f64 v[10:11], v[10:11], s[12:13]
	v_cmp_gt_i32_e32 vcc, 31, v12
	v_cndmask_b32_e32 v14, v2, v14, vcc
	v_cmp_ne_u32_e32 vcc, 0, v0
	v_cndmask_b32_e64 v0, 0, 1, vcc
	v_lshl_or_b32 v0, v0, 9, v2
	v_cmp_eq_u32_e32 vcc, s11, v12
	v_cndmask_b32_e32 v0, v14, v0, vcc
	v_and_or_b32 v10, v11, s15, v10
	v_lshrrev_b32_e32 v12, 16, v13
	v_cmp_ne_u32_e32 vcc, 0, v10
	v_and_or_b32 v0, v12, s14, v0
	v_cndmask_b32_e64 v10, 0, 1, vcc
	v_lshrrev_b32_e32 v12, 8, v11
	v_bfe_u32 v13, v11, 20, 11
	v_and_or_b32 v10, v12, s10, v10
	v_sub_u32_e32 v14, 0x3f1, v13
	v_or_b32_e32 v12, 0x1000, v10
	v_med3_i32 v14, v14, 0, 13
	v_lshrrev_b32_e32 v15, v14, v12
	v_lshlrev_b32_e32 v14, v14, v15
	v_cmp_ne_u32_e32 vcc, v14, v12
	v_cndmask_b32_e64 v12, 0, 1, vcc
	v_add_u32_e32 v16, 0xfffffc10, v13
	v_or_b32_e32 v12, v15, v12
	v_lshl_or_b32 v13, v16, 12, v10
	v_cmp_gt_i32_e32 vcc, 1, v16
	v_cndmask_b32_e32 v12, v13, v12, vcc
	v_and_b32_e32 v13, 7, v12
	v_cmp_lt_i32_e32 vcc, 5, v13
	v_cmp_eq_u32_e64 s[2:3], 3, v13
	v_lshrrev_b32_e32 v14, 2, v12
	ds_read2_b32 v[12:13], v4 offset0:72 offset1:177
	s_or_b64 vcc, s[2:3], vcc
	v_addc_co_u32_e32 v14, vcc, 0, v14, vcc
	v_cmp_gt_i32_e32 vcc, 31, v16
	s_waitcnt lgkmcnt(0)
	v_lshrrev_b32_e32 v18, 16, v12
	v_cndmask_b32_e32 v17, v2, v14, vcc
	v_mul_f16_sdwa v14, v74, v18 dst_sel:DWORD dst_unused:UNUSED_PAD src0_sel:WORD_1 src1_sel:DWORD
	v_fma_f16 v14, v74, v12, v14
	v_cvt_f32_f16_e32 v14, v14
	v_cmp_ne_u32_e32 vcc, 0, v10
	v_cndmask_b32_e64 v10, 0, 1, vcc
	v_lshl_or_b32 v10, v10, 9, v2
	v_cvt_f64_f32_e32 v[14:15], v14
	v_cmp_eq_u32_e32 vcc, s11, v16
	v_cndmask_b32_e32 v10, v17, v10, vcc
	v_lshrrev_b32_e32 v11, 16, v11
	v_and_or_b32 v16, v11, s14, v10
	v_mul_f64 v[10:11], v[14:15], s[12:13]
	v_and_b32_e32 v0, 0xffff, v0
	v_add_co_u32_e32 v8, vcc, s6, v8
	v_lshl_or_b32 v0, v16, 16, v0
	v_addc_co_u32_e32 v9, vcc, v9, v1, vcc
	global_store_dword v[8:9], v0, off
	v_and_or_b32 v0, v11, s15, v10
	v_cmp_ne_u32_e32 vcc, 0, v0
	v_cndmask_b32_e64 v0, 0, 1, vcc
	v_lshrrev_b32_e32 v10, 8, v11
	v_bfe_u32 v14, v11, 20, 11
	v_and_or_b32 v0, v10, s10, v0
	v_sub_u32_e32 v15, 0x3f1, v14
	v_or_b32_e32 v10, 0x1000, v0
	v_med3_i32 v15, v15, 0, 13
	v_lshrrev_b32_e32 v16, v15, v10
	v_lshlrev_b32_e32 v15, v15, v16
	v_cmp_ne_u32_e32 vcc, v15, v10
	v_mul_f16_sdwa v12, v74, v12 dst_sel:DWORD dst_unused:UNUSED_PAD src0_sel:WORD_1 src1_sel:DWORD
	v_cndmask_b32_e64 v10, 0, 1, vcc
	v_fma_f16 v12, v74, v18, -v12
	v_or_b32_e32 v10, v16, v10
	v_add_u32_e32 v16, 0xfffffc10, v14
	v_cvt_f32_f16_e32 v12, v12
	v_lshl_or_b32 v14, v16, 12, v0
	v_cmp_gt_i32_e32 vcc, 1, v16
	v_cndmask_b32_e32 v10, v14, v10, vcc
	v_and_b32_e32 v14, 7, v10
	v_cmp_lt_i32_e32 vcc, 5, v14
	v_cmp_eq_u32_e64 s[2:3], 3, v14
	v_cvt_f64_f32_e32 v[14:15], v12
	v_lshrrev_b32_e32 v10, 2, v10
	s_or_b64 vcc, s[2:3], vcc
	v_addc_co_u32_e32 v10, vcc, 0, v10, vcc
	v_mul_f64 v[14:15], v[14:15], s[12:13]
	v_cmp_gt_i32_e32 vcc, 31, v16
	v_cndmask_b32_e32 v10, v2, v10, vcc
	v_cmp_ne_u32_e32 vcc, 0, v0
	v_cndmask_b32_e64 v0, 0, 1, vcc
	v_lshl_or_b32 v0, v0, 9, v2
	v_cmp_eq_u32_e32 vcc, s11, v16
	v_cndmask_b32_e32 v0, v10, v0, vcc
	v_lshrrev_b32_e32 v10, 16, v11
	v_and_or_b32 v0, v10, s14, v0
	v_and_or_b32 v10, v15, s15, v14
	v_cmp_ne_u32_e32 vcc, 0, v10
	v_cndmask_b32_e64 v10, 0, 1, vcc
	v_lshrrev_b32_e32 v11, 8, v15
	v_bfe_u32 v12, v15, 20, 11
	v_and_or_b32 v10, v11, s10, v10
	v_sub_u32_e32 v14, 0x3f1, v12
	v_or_b32_e32 v11, 0x1000, v10
	v_med3_i32 v14, v14, 0, 13
	v_lshrrev_b32_e32 v16, v14, v11
	v_lshlrev_b32_e32 v14, v14, v16
	v_cmp_ne_u32_e32 vcc, v14, v11
	v_cndmask_b32_e64 v11, 0, 1, vcc
	v_add_u32_e32 v12, 0xfffffc10, v12
	v_or_b32_e32 v11, v16, v11
	v_lshl_or_b32 v14, v12, 12, v10
	v_cmp_gt_i32_e32 vcc, 1, v12
	v_cndmask_b32_e32 v11, v14, v11, vcc
	v_and_b32_e32 v14, 7, v11
	v_cmp_lt_i32_e32 vcc, 5, v14
	v_cmp_eq_u32_e64 s[2:3], 3, v14
	v_lshrrev_b32_e32 v11, 2, v11
	s_or_b64 vcc, s[2:3], vcc
	v_addc_co_u32_e32 v11, vcc, 0, v11, vcc
	v_cmp_gt_i32_e32 vcc, 31, v12
	v_lshrrev_b32_e32 v16, 16, v13
	v_cndmask_b32_e32 v14, v2, v11, vcc
	v_mul_f16_sdwa v11, v73, v16 dst_sel:DWORD dst_unused:UNUSED_PAD src0_sel:WORD_1 src1_sel:DWORD
	v_fma_f16 v11, v73, v13, v11
	v_cvt_f32_f16_e32 v11, v11
	v_cmp_ne_u32_e32 vcc, 0, v10
	v_cndmask_b32_e64 v10, 0, 1, vcc
	v_lshl_or_b32 v17, v10, 9, v2
	v_cvt_f64_f32_e32 v[10:11], v11
	v_cmp_eq_u32_e32 vcc, s11, v12
	v_cndmask_b32_e32 v12, v14, v17, vcc
	v_lshrrev_b32_e32 v14, 16, v15
	v_mul_f64 v[10:11], v[10:11], s[12:13]
	v_and_or_b32 v12, v14, s14, v12
	v_and_b32_e32 v0, 0xffff, v0
	v_add_co_u32_e32 v8, vcc, s6, v8
	v_lshl_or_b32 v0, v12, 16, v0
	v_addc_co_u32_e32 v9, vcc, v9, v1, vcc
	global_store_dword v[8:9], v0, off
	v_and_or_b32 v0, v11, s15, v10
	v_cmp_ne_u32_e32 vcc, 0, v0
	v_cndmask_b32_e64 v0, 0, 1, vcc
	v_lshrrev_b32_e32 v10, 8, v11
	v_bfe_u32 v12, v11, 20, 11
	v_and_or_b32 v0, v10, s10, v0
	v_sub_u32_e32 v14, 0x3f1, v12
	v_or_b32_e32 v10, 0x1000, v0
	v_med3_i32 v14, v14, 0, 13
	v_lshrrev_b32_e32 v15, v14, v10
	v_lshlrev_b32_e32 v14, v14, v15
	v_mul_f16_sdwa v13, v73, v13 dst_sel:DWORD dst_unused:UNUSED_PAD src0_sel:WORD_1 src1_sel:DWORD
	v_cmp_ne_u32_e32 vcc, v14, v10
	v_fma_f16 v13, v73, v16, -v13
	v_cndmask_b32_e64 v10, 0, 1, vcc
	v_add_u32_e32 v14, 0xfffffc10, v12
	v_cvt_f32_f16_e32 v13, v13
	v_or_b32_e32 v10, v15, v10
	v_lshl_or_b32 v12, v14, 12, v0
	v_cmp_gt_i32_e32 vcc, 1, v14
	v_cndmask_b32_e32 v10, v12, v10, vcc
	v_and_b32_e32 v12, 7, v10
	v_cmp_lt_i32_e32 vcc, 5, v12
	v_cmp_eq_u32_e64 s[2:3], 3, v12
	v_cvt_f64_f32_e32 v[12:13], v13
	v_lshrrev_b32_e32 v10, 2, v10
	s_or_b64 vcc, s[2:3], vcc
	v_addc_co_u32_e32 v10, vcc, 0, v10, vcc
	v_mul_f64 v[12:13], v[12:13], s[12:13]
	v_cmp_gt_i32_e32 vcc, 31, v14
	v_cndmask_b32_e32 v10, v2, v10, vcc
	v_cmp_ne_u32_e32 vcc, 0, v0
	v_cndmask_b32_e64 v0, 0, 1, vcc
	v_lshl_or_b32 v0, v0, 9, v2
	v_cmp_eq_u32_e32 vcc, s11, v14
	v_cndmask_b32_e32 v0, v10, v0, vcc
	v_lshrrev_b32_e32 v10, 16, v11
	v_and_or_b32 v0, v10, s14, v0
	v_and_or_b32 v10, v13, s15, v12
	v_cmp_ne_u32_e32 vcc, 0, v10
	v_cndmask_b32_e64 v10, 0, 1, vcc
	v_lshrrev_b32_e32 v11, 8, v13
	v_and_or_b32 v12, v11, s10, v10
	v_bfe_u32 v11, v13, 20, 11
	v_sub_u32_e32 v14, 0x3f1, v11
	v_or_b32_e32 v10, 0x1000, v12
	v_med3_i32 v14, v14, 0, 13
	v_lshrrev_b32_e32 v15, v14, v10
	v_lshlrev_b32_e32 v14, v14, v15
	v_cmp_ne_u32_e32 vcc, v14, v10
	v_cndmask_b32_e64 v10, 0, 1, vcc
	v_add_u32_e32 v16, 0xfffffc10, v11
	v_or_b32_e32 v10, v15, v10
	v_lshl_or_b32 v11, v16, 12, v12
	v_cmp_gt_i32_e32 vcc, 1, v16
	v_cndmask_b32_e32 v10, v11, v10, vcc
	v_and_b32_e32 v11, 7, v10
	v_cmp_lt_i32_e32 vcc, 5, v11
	v_cmp_eq_u32_e64 s[2:3], 3, v11
	v_lshrrev_b32_e32 v14, 2, v10
	ds_read2_b32 v[10:11], v3 offset0:26 offset1:131
	s_or_b64 vcc, s[2:3], vcc
	v_addc_co_u32_e32 v14, vcc, 0, v14, vcc
	v_cmp_gt_i32_e32 vcc, 31, v16
	s_waitcnt lgkmcnt(0)
	v_lshrrev_b32_e32 v18, 16, v10
	v_cndmask_b32_e32 v17, v2, v14, vcc
	v_mul_f16_sdwa v14, v72, v18 dst_sel:DWORD dst_unused:UNUSED_PAD src0_sel:WORD_1 src1_sel:DWORD
	v_fma_f16 v14, v72, v10, v14
	v_cvt_f32_f16_e32 v14, v14
	v_cmp_ne_u32_e32 vcc, 0, v12
	v_cndmask_b32_e64 v12, 0, 1, vcc
	v_lshl_or_b32 v12, v12, 9, v2
	v_cvt_f64_f32_e32 v[14:15], v14
	v_cmp_eq_u32_e32 vcc, s11, v16
	v_cndmask_b32_e32 v12, v17, v12, vcc
	v_lshrrev_b32_e32 v13, 16, v13
	v_and_or_b32 v16, v13, s14, v12
	v_mul_f64 v[12:13], v[14:15], s[12:13]
	v_and_b32_e32 v0, 0xffff, v0
	v_add_co_u32_e32 v8, vcc, s6, v8
	v_lshl_or_b32 v0, v16, 16, v0
	v_addc_co_u32_e32 v9, vcc, v9, v1, vcc
	global_store_dword v[8:9], v0, off
	v_and_or_b32 v0, v13, s15, v12
	v_cmp_ne_u32_e32 vcc, 0, v0
	v_cndmask_b32_e64 v0, 0, 1, vcc
	v_lshrrev_b32_e32 v12, 8, v13
	v_bfe_u32 v14, v13, 20, 11
	v_and_or_b32 v0, v12, s10, v0
	v_sub_u32_e32 v15, 0x3f1, v14
	v_or_b32_e32 v12, 0x1000, v0
	v_med3_i32 v15, v15, 0, 13
	v_lshrrev_b32_e32 v16, v15, v12
	v_lshlrev_b32_e32 v15, v15, v16
	v_cmp_ne_u32_e32 vcc, v15, v12
	v_mul_f16_sdwa v10, v72, v10 dst_sel:DWORD dst_unused:UNUSED_PAD src0_sel:WORD_1 src1_sel:DWORD
	v_cndmask_b32_e64 v12, 0, 1, vcc
	v_fma_f16 v10, v72, v18, -v10
	v_or_b32_e32 v12, v16, v12
	v_add_u32_e32 v16, 0xfffffc10, v14
	v_cvt_f32_f16_e32 v10, v10
	v_lshl_or_b32 v14, v16, 12, v0
	v_cmp_gt_i32_e32 vcc, 1, v16
	v_cndmask_b32_e32 v12, v14, v12, vcc
	v_and_b32_e32 v14, 7, v12
	v_cmp_lt_i32_e32 vcc, 5, v14
	v_cmp_eq_u32_e64 s[2:3], 3, v14
	v_cvt_f64_f32_e32 v[14:15], v10
	v_lshrrev_b32_e32 v12, 2, v12
	s_or_b64 vcc, s[2:3], vcc
	v_addc_co_u32_e32 v10, vcc, 0, v12, vcc
	v_mul_f64 v[14:15], v[14:15], s[12:13]
	v_cmp_gt_i32_e32 vcc, 31, v16
	v_cndmask_b32_e32 v10, v2, v10, vcc
	v_cmp_ne_u32_e32 vcc, 0, v0
	v_cndmask_b32_e64 v0, 0, 1, vcc
	v_lshl_or_b32 v0, v0, 9, v2
	v_cmp_eq_u32_e32 vcc, s11, v16
	v_cndmask_b32_e32 v0, v10, v0, vcc
	v_lshrrev_b32_e32 v10, 16, v13
	v_and_or_b32 v0, v10, s14, v0
	v_and_or_b32 v10, v15, s15, v14
	v_cmp_ne_u32_e32 vcc, 0, v10
	v_cndmask_b32_e64 v10, 0, 1, vcc
	v_lshrrev_b32_e32 v12, 8, v15
	v_bfe_u32 v13, v15, 20, 11
	v_and_or_b32 v10, v12, s10, v10
	v_sub_u32_e32 v14, 0x3f1, v13
	v_or_b32_e32 v12, 0x1000, v10
	v_med3_i32 v14, v14, 0, 13
	v_lshrrev_b32_e32 v16, v14, v12
	v_lshlrev_b32_e32 v14, v14, v16
	v_cmp_ne_u32_e32 vcc, v14, v12
	v_cndmask_b32_e64 v12, 0, 1, vcc
	v_add_u32_e32 v14, 0xfffffc10, v13
	v_or_b32_e32 v12, v16, v12
	v_lshl_or_b32 v13, v14, 12, v10
	v_cmp_gt_i32_e32 vcc, 1, v14
	v_cndmask_b32_e32 v12, v13, v12, vcc
	v_and_b32_e32 v13, 7, v12
	v_cmp_lt_i32_e32 vcc, 5, v13
	v_cmp_eq_u32_e64 s[2:3], 3, v13
	v_lshrrev_b32_e32 v12, 2, v12
	s_or_b64 vcc, s[2:3], vcc
	v_addc_co_u32_e32 v12, vcc, 0, v12, vcc
	v_cmp_gt_i32_e32 vcc, 31, v14
	v_lshrrev_b32_e32 v17, 16, v11
	v_cndmask_b32_e32 v16, v2, v12, vcc
	v_mul_f16_sdwa v12, v71, v17 dst_sel:DWORD dst_unused:UNUSED_PAD src0_sel:WORD_1 src1_sel:DWORD
	v_fma_f16 v12, v71, v11, v12
	v_cvt_f32_f16_e32 v12, v12
	v_cmp_ne_u32_e32 vcc, 0, v10
	v_cndmask_b32_e64 v10, 0, 1, vcc
	v_lshl_or_b32 v10, v10, 9, v2
	v_cvt_f64_f32_e32 v[12:13], v12
	v_cmp_eq_u32_e32 vcc, s11, v14
	v_cndmask_b32_e32 v10, v16, v10, vcc
	v_lshrrev_b32_e32 v14, 16, v15
	v_mul_f64 v[12:13], v[12:13], s[12:13]
	v_and_or_b32 v10, v14, s14, v10
	v_and_b32_e32 v0, 0xffff, v0
	v_add_co_u32_e32 v8, vcc, s6, v8
	v_lshl_or_b32 v0, v10, 16, v0
	v_addc_co_u32_e32 v9, vcc, v9, v1, vcc
	global_store_dword v[8:9], v0, off
	v_and_or_b32 v0, v13, s15, v12
	v_cmp_ne_u32_e32 vcc, 0, v0
	v_cndmask_b32_e64 v0, 0, 1, vcc
	v_lshrrev_b32_e32 v10, 8, v13
	v_bfe_u32 v12, v13, 20, 11
	v_and_or_b32 v0, v10, s10, v0
	v_sub_u32_e32 v14, 0x3f1, v12
	v_or_b32_e32 v10, 0x1000, v0
	v_med3_i32 v14, v14, 0, 13
	v_lshrrev_b32_e32 v15, v14, v10
	v_lshlrev_b32_e32 v14, v14, v15
	v_mul_f16_sdwa v11, v71, v11 dst_sel:DWORD dst_unused:UNUSED_PAD src0_sel:WORD_1 src1_sel:DWORD
	v_cmp_ne_u32_e32 vcc, v14, v10
	v_fma_f16 v11, v71, v17, -v11
	v_cndmask_b32_e64 v10, 0, 1, vcc
	v_add_u32_e32 v12, 0xfffffc10, v12
	v_cvt_f32_f16_e32 v11, v11
	v_or_b32_e32 v10, v15, v10
	v_lshl_or_b32 v14, v12, 12, v0
	v_cmp_gt_i32_e32 vcc, 1, v12
	v_cndmask_b32_e32 v10, v14, v10, vcc
	v_and_b32_e32 v14, 7, v10
	v_cmp_lt_i32_e32 vcc, 5, v14
	v_cmp_eq_u32_e64 s[2:3], 3, v14
	v_lshrrev_b32_e32 v14, 2, v10
	v_cvt_f64_f32_e32 v[10:11], v11
	s_or_b64 vcc, s[2:3], vcc
	v_addc_co_u32_e32 v14, vcc, 0, v14, vcc
	v_mul_f64 v[10:11], v[10:11], s[12:13]
	v_cmp_gt_i32_e32 vcc, 31, v12
	v_cndmask_b32_e32 v14, v2, v14, vcc
	v_cmp_ne_u32_e32 vcc, 0, v0
	v_cndmask_b32_e64 v0, 0, 1, vcc
	v_lshl_or_b32 v0, v0, 9, v2
	v_cmp_eq_u32_e32 vcc, s11, v12
	v_cndmask_b32_e32 v0, v14, v0, vcc
	v_and_or_b32 v10, v11, s15, v10
	v_lshrrev_b32_e32 v12, 16, v13
	v_cmp_ne_u32_e32 vcc, 0, v10
	v_and_or_b32 v0, v12, s14, v0
	v_cndmask_b32_e64 v10, 0, 1, vcc
	v_lshrrev_b32_e32 v12, 8, v11
	v_bfe_u32 v13, v11, 20, 11
	v_and_or_b32 v10, v12, s10, v10
	v_sub_u32_e32 v14, 0x3f1, v13
	v_or_b32_e32 v12, 0x1000, v10
	v_med3_i32 v14, v14, 0, 13
	v_lshrrev_b32_e32 v15, v14, v12
	v_lshlrev_b32_e32 v14, v14, v15
	v_cmp_ne_u32_e32 vcc, v14, v12
	v_cndmask_b32_e64 v12, 0, 1, vcc
	v_add_u32_e32 v14, 0xfffffc10, v13
	v_or_b32_e32 v12, v15, v12
	v_lshl_or_b32 v13, v14, 12, v10
	v_cmp_gt_i32_e32 vcc, 1, v14
	v_cndmask_b32_e32 v12, v13, v12, vcc
	ds_read_b32 v15, v69 offset:5040
	v_and_b32_e32 v13, 7, v12
	v_cmp_lt_i32_e32 vcc, 5, v13
	v_cmp_eq_u32_e64 s[2:3], 3, v13
	v_lshrrev_b32_e32 v12, 2, v12
	s_or_b64 vcc, s[2:3], vcc
	v_addc_co_u32_e32 v12, vcc, 0, v12, vcc
	v_cmp_gt_i32_e32 vcc, 31, v14
	s_waitcnt lgkmcnt(0)
	v_lshrrev_b32_e32 v17, 16, v15
	v_cndmask_b32_e32 v16, v2, v12, vcc
	v_mul_f16_sdwa v12, v70, v17 dst_sel:DWORD dst_unused:UNUSED_PAD src0_sel:WORD_1 src1_sel:DWORD
	v_fma_f16 v12, v70, v15, v12
	v_cvt_f32_f16_e32 v12, v12
	v_cmp_ne_u32_e32 vcc, 0, v10
	v_cndmask_b32_e64 v10, 0, 1, vcc
	v_lshl_or_b32 v10, v10, 9, v2
	v_cvt_f64_f32_e32 v[12:13], v12
	v_cmp_eq_u32_e32 vcc, s11, v14
	v_cndmask_b32_e32 v10, v16, v10, vcc
	v_lshrrev_b32_e32 v11, 16, v11
	v_and_or_b32 v14, v11, s14, v10
	v_mul_f64 v[10:11], v[12:13], s[12:13]
	v_and_b32_e32 v0, 0xffff, v0
	v_add_co_u32_e32 v8, vcc, s6, v8
	v_lshl_or_b32 v0, v14, 16, v0
	v_addc_co_u32_e32 v9, vcc, v9, v1, vcc
	global_store_dword v[8:9], v0, off
	v_and_or_b32 v0, v11, s15, v10
	v_cmp_ne_u32_e32 vcc, 0, v0
	v_cndmask_b32_e64 v0, 0, 1, vcc
	v_lshrrev_b32_e32 v10, 8, v11
	v_bfe_u32 v12, v11, 20, 11
	v_and_or_b32 v0, v10, s10, v0
	v_sub_u32_e32 v13, 0x3f1, v12
	v_or_b32_e32 v10, 0x1000, v0
	v_med3_i32 v13, v13, 0, 13
	v_lshrrev_b32_e32 v14, v13, v10
	v_lshlrev_b32_e32 v13, v13, v14
	v_cmp_ne_u32_e32 vcc, v13, v10
	v_mul_f16_sdwa v13, v70, v15 dst_sel:DWORD dst_unused:UNUSED_PAD src0_sel:WORD_1 src1_sel:DWORD
	v_cndmask_b32_e64 v10, 0, 1, vcc
	v_fma_f16 v13, v70, v17, -v13
	v_or_b32_e32 v10, v14, v10
	v_add_u32_e32 v14, 0xfffffc10, v12
	v_cvt_f32_f16_e32 v13, v13
	v_lshl_or_b32 v12, v14, 12, v0
	v_cmp_gt_i32_e32 vcc, 1, v14
	v_cndmask_b32_e32 v10, v12, v10, vcc
	v_and_b32_e32 v12, 7, v10
	v_cmp_lt_i32_e32 vcc, 5, v12
	v_cmp_eq_u32_e64 s[2:3], 3, v12
	v_cvt_f64_f32_e32 v[12:13], v13
	v_lshrrev_b32_e32 v10, 2, v10
	s_or_b64 vcc, s[2:3], vcc
	v_addc_co_u32_e32 v10, vcc, 0, v10, vcc
	v_mul_f64 v[12:13], v[12:13], s[12:13]
	v_cmp_gt_i32_e32 vcc, 31, v14
	v_cndmask_b32_e32 v10, v2, v10, vcc
	v_cmp_ne_u32_e32 vcc, 0, v0
	v_cndmask_b32_e64 v0, 0, 1, vcc
	v_lshl_or_b32 v0, v0, 9, v2
	v_cmp_eq_u32_e32 vcc, s11, v14
	v_cndmask_b32_e32 v0, v10, v0, vcc
	v_lshrrev_b32_e32 v10, 16, v11
	v_and_or_b32 v0, v10, s14, v0
	v_and_or_b32 v10, v13, s15, v12
	v_cmp_ne_u32_e32 vcc, 0, v10
	v_cndmask_b32_e64 v10, 0, 1, vcc
	v_lshrrev_b32_e32 v11, 8, v13
	v_bfe_u32 v12, v13, 20, 11
	v_and_or_b32 v10, v11, s10, v10
	v_sub_u32_e32 v14, 0x3f1, v12
	v_or_b32_e32 v11, 0x1000, v10
	v_med3_i32 v14, v14, 0, 13
	v_lshrrev_b32_e32 v15, v14, v11
	v_lshlrev_b32_e32 v14, v14, v15
	v_cmp_ne_u32_e32 vcc, v14, v11
	v_cndmask_b32_e64 v11, 0, 1, vcc
	v_add_u32_e32 v12, 0xfffffc10, v12
	v_or_b32_e32 v11, v15, v11
	v_lshl_or_b32 v14, v12, 12, v10
	v_cmp_gt_i32_e32 vcc, 1, v12
	v_cndmask_b32_e32 v11, v14, v11, vcc
	v_and_b32_e32 v14, 7, v11
	v_cmp_lt_i32_e32 vcc, 5, v14
	v_cmp_eq_u32_e64 s[2:3], 3, v14
	v_lshrrev_b32_e32 v11, 2, v11
	s_or_b64 vcc, s[2:3], vcc
	v_addc_co_u32_e32 v11, vcc, 0, v11, vcc
	v_cmp_gt_i32_e32 vcc, 31, v12
	v_cndmask_b32_e32 v11, v2, v11, vcc
	v_cmp_ne_u32_e32 vcc, 0, v10
	v_cndmask_b32_e64 v10, 0, 1, vcc
	v_lshl_or_b32 v10, v10, 9, v2
	v_cmp_eq_u32_e32 vcc, s11, v12
	v_cndmask_b32_e32 v10, v11, v10, vcc
	v_lshrrev_b32_e32 v11, 16, v13
	v_and_or_b32 v10, v11, s14, v10
	v_and_b32_e32 v0, 0xffff, v0
	v_lshl_or_b32 v10, v10, 16, v0
	v_add_co_u32_e32 v0, vcc, s6, v8
	v_addc_co_u32_e32 v1, vcc, v9, v1, vcc
	global_store_dword v[0:1], v10, off
	s_and_b64 exec, exec, s[0:1]
	s_cbranch_execz .LBB0_23
; %bb.22:
	global_load_dword v8, v[20:21], off offset:364
	ds_read_b32 v9, v85 offset:364
	v_mov_b32_e32 v12, 0xffffedbc
	v_mad_u64_u32 v[0:1], s[0:1], s8, v12, v[0:1]
	s_mul_i32 s0, s9, 0xffffedbc
	s_waitcnt lgkmcnt(0)
	v_lshrrev_b32_e32 v10, 16, v9
	s_sub_i32 s0, s0, s8
	v_add_u32_e32 v1, s0, v1
	s_waitcnt vmcnt(0)
	v_mul_f16_sdwa v11, v10, v8 dst_sel:DWORD dst_unused:UNUSED_PAD src0_sel:DWORD src1_sel:WORD_1
	v_fma_f16 v11, v9, v8, v11
	v_mul_f16_sdwa v9, v9, v8 dst_sel:DWORD dst_unused:UNUSED_PAD src0_sel:DWORD src1_sel:WORD_1
	v_cvt_f32_f16_e32 v11, v11
	v_fma_f16 v8, v8, v10, -v9
	v_cvt_f32_f16_e32 v10, v8
	v_cvt_f64_f32_e32 v[8:9], v11
	v_cvt_f64_f32_e32 v[10:11], v10
	v_mul_f64 v[8:9], v[8:9], s[12:13]
	v_mul_f64 v[10:11], v[10:11], s[12:13]
	v_and_or_b32 v8, v9, s15, v8
	v_cmp_ne_u32_e32 vcc, 0, v8
	v_and_or_b32 v10, v11, s15, v10
	v_lshrrev_b32_e32 v12, 8, v9
	v_bfe_u32 v13, v9, 20, 11
	v_cndmask_b32_e64 v8, 0, 1, vcc
	v_cmp_ne_u32_e32 vcc, 0, v10
	v_lshrrev_b32_e32 v14, 8, v11
	v_bfe_u32 v15, v11, 20, 11
	v_sub_u32_e32 v16, 0x3f1, v13
	v_cndmask_b32_e64 v10, 0, 1, vcc
	v_and_or_b32 v8, v12, s10, v8
	v_sub_u32_e32 v17, 0x3f1, v15
	v_med3_i32 v12, v16, 0, 13
	v_and_or_b32 v10, v14, s10, v10
	v_or_b32_e32 v16, 0x1000, v8
	v_add_u32_e32 v13, 0xfffffc10, v13
	v_med3_i32 v14, v17, 0, 13
	v_cmp_ne_u32_e32 vcc, 0, v8
	v_or_b32_e32 v18, 0x1000, v10
	v_lshrrev_b32_e32 v22, v12, v16
	v_add_u32_e32 v15, 0xfffffc10, v15
	v_lshl_or_b32 v17, v13, 12, v8
	v_cndmask_b32_e64 v8, 0, 1, vcc
	v_cmp_ne_u32_e32 vcc, 0, v10
	v_lshrrev_b32_e32 v23, v14, v18
	v_lshlrev_b32_e32 v12, v12, v22
	v_lshl_or_b32 v19, v15, 12, v10
	v_cndmask_b32_e64 v10, 0, 1, vcc
	v_lshlrev_b32_e32 v14, v14, v23
	v_cmp_ne_u32_e32 vcc, v12, v16
	v_cndmask_b32_e64 v12, 0, 1, vcc
	v_cmp_ne_u32_e32 vcc, v14, v18
	v_cndmask_b32_e64 v14, 0, 1, vcc
	v_or_b32_e32 v12, v22, v12
	v_cmp_gt_i32_e32 vcc, 1, v13
	v_cndmask_b32_e32 v12, v17, v12, vcc
	v_or_b32_e32 v14, v23, v14
	v_cmp_gt_i32_e32 vcc, 1, v15
	v_and_b32_e32 v16, 7, v12
	v_cndmask_b32_e32 v14, v19, v14, vcc
	v_cmp_lt_i32_e32 vcc, 5, v16
	v_cmp_eq_u32_e64 s[0:1], 3, v16
	v_lshrrev_b32_e32 v12, 2, v12
	v_and_b32_e32 v17, 7, v14
	s_or_b64 vcc, s[0:1], vcc
	v_cmp_lt_i32_e64 s[2:3], 5, v17
	v_cmp_eq_u32_e64 s[4:5], 3, v17
	v_addc_co_u32_e32 v12, vcc, 0, v12, vcc
	v_lshrrev_b32_e32 v14, 2, v14
	s_or_b64 vcc, s[4:5], s[2:3]
	v_addc_co_u32_e32 v14, vcc, 0, v14, vcc
	v_cmp_gt_i32_e32 vcc, 31, v13
	v_cndmask_b32_e32 v12, v2, v12, vcc
	v_cmp_gt_i32_e32 vcc, 31, v15
	v_lshl_or_b32 v8, v8, 9, v2
	v_cndmask_b32_e32 v14, v2, v14, vcc
	v_cmp_eq_u32_e32 vcc, s11, v13
	v_lshrrev_b32_e32 v9, 16, v9
	v_lshl_or_b32 v10, v10, 9, v2
	v_cndmask_b32_e32 v8, v12, v8, vcc
	v_cmp_eq_u32_e32 vcc, s11, v15
	v_lshrrev_b32_e32 v11, 16, v11
	v_cndmask_b32_e32 v10, v14, v10, vcc
	v_and_or_b32 v8, v9, s14, v8
	v_and_or_b32 v9, v11, s14, v10
	v_and_b32_e32 v8, 0xffff, v8
	v_lshl_or_b32 v8, v9, 16, v8
	global_store_dword v[0:1], v8, off
	global_load_dword v9, v[20:21], off offset:784
	ds_read2_b32 v[7:8], v7 offset0:68 offset1:173
	v_add_co_u32_e32 v0, vcc, s6, v0
	s_waitcnt lgkmcnt(0)
	v_lshrrev_b32_e32 v10, 16, v7
	s_waitcnt vmcnt(0)
	v_mul_f16_sdwa v11, v10, v9 dst_sel:DWORD dst_unused:UNUSED_PAD src0_sel:DWORD src1_sel:WORD_1
	v_fma_f16 v11, v7, v9, v11
	v_mul_f16_sdwa v7, v7, v9 dst_sel:DWORD dst_unused:UNUSED_PAD src0_sel:DWORD src1_sel:WORD_1
	v_cvt_f32_f16_e32 v11, v11
	v_fma_f16 v7, v9, v10, -v7
	v_cvt_f32_f16_e32 v7, v7
	v_cvt_f64_f32_e32 v[9:10], v11
	v_cvt_f64_f32_e32 v[11:12], v7
	v_mov_b32_e32 v7, s7
	v_mul_f64 v[9:10], v[9:10], s[12:13]
	v_addc_co_u32_e32 v1, vcc, v1, v7, vcc
	v_mul_f64 v[11:12], v[11:12], s[12:13]
	v_and_or_b32 v9, v10, s15, v9
	v_cmp_ne_u32_e32 vcc, 0, v9
	v_lshrrev_b32_e32 v13, 8, v10
	v_and_or_b32 v11, v12, s15, v11
	v_bfe_u32 v14, v10, 20, 11
	v_cndmask_b32_e64 v9, 0, 1, vcc
	v_cmp_ne_u32_e32 vcc, 0, v11
	v_lshrrev_b32_e32 v15, 8, v12
	v_bfe_u32 v16, v12, 20, 11
	v_sub_u32_e32 v17, 0x3f1, v14
	v_cndmask_b32_e64 v11, 0, 1, vcc
	v_and_or_b32 v9, v13, s10, v9
	v_sub_u32_e32 v18, 0x3f1, v16
	v_med3_i32 v13, v17, 0, 13
	v_and_or_b32 v11, v15, s10, v11
	v_or_b32_e32 v17, 0x1000, v9
	v_add_u32_e32 v14, 0xfffffc10, v14
	v_med3_i32 v15, v18, 0, 13
	v_cmp_ne_u32_e32 vcc, 0, v9
	v_or_b32_e32 v19, 0x1000, v11
	v_lshrrev_b32_e32 v23, v13, v17
	v_add_u32_e32 v16, 0xfffffc10, v16
	v_lshl_or_b32 v18, v14, 12, v9
	v_cndmask_b32_e64 v9, 0, 1, vcc
	v_cmp_ne_u32_e32 vcc, 0, v11
	v_lshrrev_b32_e32 v24, v15, v19
	v_lshlrev_b32_e32 v13, v13, v23
	v_lshl_or_b32 v22, v16, 12, v11
	v_cndmask_b32_e64 v11, 0, 1, vcc
	v_lshlrev_b32_e32 v15, v15, v24
	v_cmp_ne_u32_e32 vcc, v13, v17
	v_cndmask_b32_e64 v13, 0, 1, vcc
	v_cmp_ne_u32_e32 vcc, v15, v19
	v_cndmask_b32_e64 v15, 0, 1, vcc
	v_or_b32_e32 v13, v23, v13
	v_cmp_gt_i32_e32 vcc, 1, v14
	v_cndmask_b32_e32 v13, v18, v13, vcc
	v_or_b32_e32 v15, v24, v15
	v_cmp_gt_i32_e32 vcc, 1, v16
	v_and_b32_e32 v17, 7, v13
	v_cndmask_b32_e32 v15, v22, v15, vcc
	v_cmp_lt_i32_e32 vcc, 5, v17
	v_cmp_eq_u32_e64 s[0:1], 3, v17
	v_lshrrev_b32_e32 v13, 2, v13
	v_and_b32_e32 v18, 7, v15
	s_or_b64 vcc, s[0:1], vcc
	v_cmp_lt_i32_e64 s[2:3], 5, v18
	v_cmp_eq_u32_e64 s[4:5], 3, v18
	v_addc_co_u32_e32 v13, vcc, 0, v13, vcc
	v_lshrrev_b32_e32 v15, 2, v15
	s_or_b64 vcc, s[4:5], s[2:3]
	v_addc_co_u32_e32 v15, vcc, 0, v15, vcc
	v_cmp_gt_i32_e32 vcc, 31, v14
	v_cndmask_b32_e32 v13, v2, v13, vcc
	v_cmp_gt_i32_e32 vcc, 31, v16
	v_lshl_or_b32 v9, v9, 9, v2
	v_cndmask_b32_e32 v15, v2, v15, vcc
	v_cmp_eq_u32_e32 vcc, s11, v14
	v_lshrrev_b32_e32 v10, 16, v10
	v_lshl_or_b32 v11, v11, 9, v2
	v_cndmask_b32_e32 v9, v13, v9, vcc
	v_cmp_eq_u32_e32 vcc, s11, v16
	v_lshrrev_b32_e32 v12, 16, v12
	v_cndmask_b32_e32 v11, v15, v11, vcc
	v_and_or_b32 v9, v10, s14, v9
	v_and_or_b32 v10, v12, s14, v11
	v_and_b32_e32 v9, 0xffff, v9
	v_lshl_or_b32 v9, v10, 16, v9
	global_store_dword v[0:1], v9, off
	global_load_dword v9, v[20:21], off offset:1204
	v_lshrrev_b32_e32 v10, 16, v8
	v_add_co_u32_e32 v0, vcc, s6, v0
	v_addc_co_u32_e32 v1, vcc, v1, v7, vcc
	s_waitcnt vmcnt(0)
	v_mul_f16_sdwa v11, v10, v9 dst_sel:DWORD dst_unused:UNUSED_PAD src0_sel:DWORD src1_sel:WORD_1
	v_fma_f16 v11, v8, v9, v11
	v_mul_f16_sdwa v8, v8, v9 dst_sel:DWORD dst_unused:UNUSED_PAD src0_sel:DWORD src1_sel:WORD_1
	v_cvt_f32_f16_e32 v11, v11
	v_fma_f16 v8, v9, v10, -v8
	v_cvt_f32_f16_e32 v10, v8
	v_cvt_f64_f32_e32 v[8:9], v11
	v_cvt_f64_f32_e32 v[10:11], v10
	v_mul_f64 v[8:9], v[8:9], s[12:13]
	v_mul_f64 v[10:11], v[10:11], s[12:13]
	v_and_or_b32 v8, v9, s15, v8
	v_cmp_ne_u32_e32 vcc, 0, v8
	v_and_or_b32 v10, v11, s15, v10
	v_lshrrev_b32_e32 v12, 8, v9
	v_bfe_u32 v13, v9, 20, 11
	v_cndmask_b32_e64 v8, 0, 1, vcc
	v_cmp_ne_u32_e32 vcc, 0, v10
	v_lshrrev_b32_e32 v14, 8, v11
	v_bfe_u32 v15, v11, 20, 11
	v_sub_u32_e32 v16, 0x3f1, v13
	v_cndmask_b32_e64 v10, 0, 1, vcc
	v_and_or_b32 v8, v12, s10, v8
	v_sub_u32_e32 v17, 0x3f1, v15
	v_med3_i32 v12, v16, 0, 13
	v_and_or_b32 v10, v14, s10, v10
	v_or_b32_e32 v16, 0x1000, v8
	v_add_u32_e32 v13, 0xfffffc10, v13
	v_med3_i32 v14, v17, 0, 13
	v_cmp_ne_u32_e32 vcc, 0, v8
	v_or_b32_e32 v18, 0x1000, v10
	v_lshrrev_b32_e32 v22, v12, v16
	v_add_u32_e32 v15, 0xfffffc10, v15
	v_lshl_or_b32 v17, v13, 12, v8
	v_cndmask_b32_e64 v8, 0, 1, vcc
	v_cmp_ne_u32_e32 vcc, 0, v10
	v_lshrrev_b32_e32 v23, v14, v18
	v_lshlrev_b32_e32 v12, v12, v22
	v_lshl_or_b32 v19, v15, 12, v10
	v_cndmask_b32_e64 v10, 0, 1, vcc
	v_lshlrev_b32_e32 v14, v14, v23
	v_cmp_ne_u32_e32 vcc, v12, v16
	v_cndmask_b32_e64 v12, 0, 1, vcc
	v_cmp_ne_u32_e32 vcc, v14, v18
	v_cndmask_b32_e64 v14, 0, 1, vcc
	v_or_b32_e32 v12, v22, v12
	v_cmp_gt_i32_e32 vcc, 1, v13
	v_cndmask_b32_e32 v12, v17, v12, vcc
	v_or_b32_e32 v14, v23, v14
	v_cmp_gt_i32_e32 vcc, 1, v15
	v_and_b32_e32 v16, 7, v12
	v_cndmask_b32_e32 v14, v19, v14, vcc
	v_cmp_lt_i32_e32 vcc, 5, v16
	v_cmp_eq_u32_e64 s[0:1], 3, v16
	v_lshrrev_b32_e32 v12, 2, v12
	v_and_b32_e32 v17, 7, v14
	s_or_b64 vcc, s[0:1], vcc
	v_cmp_lt_i32_e64 s[2:3], 5, v17
	v_cmp_eq_u32_e64 s[4:5], 3, v17
	v_addc_co_u32_e32 v12, vcc, 0, v12, vcc
	v_lshrrev_b32_e32 v14, 2, v14
	s_or_b64 vcc, s[4:5], s[2:3]
	v_addc_co_u32_e32 v14, vcc, 0, v14, vcc
	v_cmp_gt_i32_e32 vcc, 31, v13
	v_cndmask_b32_e32 v12, v2, v12, vcc
	v_cmp_gt_i32_e32 vcc, 31, v15
	v_lshl_or_b32 v8, v8, 9, v2
	v_cndmask_b32_e32 v14, v2, v14, vcc
	v_cmp_eq_u32_e32 vcc, s11, v13
	v_lshrrev_b32_e32 v9, 16, v9
	v_lshl_or_b32 v10, v10, 9, v2
	v_cndmask_b32_e32 v8, v12, v8, vcc
	v_cmp_eq_u32_e32 vcc, s11, v15
	v_lshrrev_b32_e32 v11, 16, v11
	v_cndmask_b32_e32 v10, v14, v10, vcc
	v_and_or_b32 v8, v9, s14, v8
	v_and_or_b32 v9, v11, s14, v10
	v_and_b32_e32 v8, 0xffff, v8
	v_lshl_or_b32 v8, v9, 16, v8
	global_store_dword v[0:1], v8, off
	global_load_dword v10, v[20:21], off offset:1624
	ds_read2_b32 v[8:9], v6 offset0:150 offset1:255
	v_add_co_u32_e32 v0, vcc, s6, v0
	v_addc_co_u32_e32 v1, vcc, v1, v7, vcc
	s_waitcnt lgkmcnt(0)
	v_lshrrev_b32_e32 v6, 16, v8
	s_waitcnt vmcnt(0)
	v_mul_f16_sdwa v11, v6, v10 dst_sel:DWORD dst_unused:UNUSED_PAD src0_sel:DWORD src1_sel:WORD_1
	v_fma_f16 v11, v8, v10, v11
	v_mul_f16_sdwa v8, v8, v10 dst_sel:DWORD dst_unused:UNUSED_PAD src0_sel:DWORD src1_sel:WORD_1
	v_cvt_f32_f16_e32 v11, v11
	v_fma_f16 v6, v10, v6, -v8
	v_cvt_f32_f16_e32 v6, v6
	v_cvt_f64_f32_e32 v[10:11], v11
	v_cvt_f64_f32_e32 v[12:13], v6
	v_mul_f64 v[10:11], v[10:11], s[12:13]
	v_mul_f64 v[12:13], v[12:13], s[12:13]
	v_and_or_b32 v6, v11, s15, v10
	v_cmp_ne_u32_e32 vcc, 0, v6
	v_and_or_b32 v12, v13, s15, v12
	v_lshrrev_b32_e32 v8, 8, v11
	v_bfe_u32 v10, v11, 20, 11
	v_cndmask_b32_e64 v6, 0, 1, vcc
	v_cmp_ne_u32_e32 vcc, 0, v12
	v_lshrrev_b32_e32 v14, 8, v13
	v_bfe_u32 v15, v13, 20, 11
	v_sub_u32_e32 v16, 0x3f1, v10
	v_cndmask_b32_e64 v12, 0, 1, vcc
	v_and_or_b32 v6, v8, s10, v6
	v_sub_u32_e32 v17, 0x3f1, v15
	v_med3_i32 v8, v16, 0, 13
	v_and_or_b32 v12, v14, s10, v12
	v_or_b32_e32 v16, 0x1000, v6
	v_add_u32_e32 v10, 0xfffffc10, v10
	v_med3_i32 v14, v17, 0, 13
	v_cmp_ne_u32_e32 vcc, 0, v6
	v_or_b32_e32 v18, 0x1000, v12
	v_lshrrev_b32_e32 v22, v8, v16
	v_add_u32_e32 v15, 0xfffffc10, v15
	v_lshl_or_b32 v17, v10, 12, v6
	v_cndmask_b32_e64 v6, 0, 1, vcc
	v_cmp_ne_u32_e32 vcc, 0, v12
	v_lshrrev_b32_e32 v23, v14, v18
	v_lshlrev_b32_e32 v8, v8, v22
	v_lshl_or_b32 v19, v15, 12, v12
	v_cndmask_b32_e64 v12, 0, 1, vcc
	v_lshlrev_b32_e32 v14, v14, v23
	v_cmp_ne_u32_e32 vcc, v8, v16
	v_cndmask_b32_e64 v8, 0, 1, vcc
	v_cmp_ne_u32_e32 vcc, v14, v18
	v_cndmask_b32_e64 v14, 0, 1, vcc
	v_or_b32_e32 v8, v22, v8
	v_cmp_gt_i32_e32 vcc, 1, v10
	v_cndmask_b32_e32 v8, v17, v8, vcc
	v_or_b32_e32 v14, v23, v14
	v_cmp_gt_i32_e32 vcc, 1, v15
	v_and_b32_e32 v16, 7, v8
	v_cndmask_b32_e32 v14, v19, v14, vcc
	v_cmp_lt_i32_e32 vcc, 5, v16
	v_cmp_eq_u32_e64 s[0:1], 3, v16
	v_lshrrev_b32_e32 v8, 2, v8
	v_and_b32_e32 v17, 7, v14
	s_or_b64 vcc, s[0:1], vcc
	v_cmp_lt_i32_e64 s[2:3], 5, v17
	v_cmp_eq_u32_e64 s[4:5], 3, v17
	v_addc_co_u32_e32 v8, vcc, 0, v8, vcc
	v_lshrrev_b32_e32 v14, 2, v14
	s_or_b64 vcc, s[4:5], s[2:3]
	v_addc_co_u32_e32 v14, vcc, 0, v14, vcc
	v_cmp_gt_i32_e32 vcc, 31, v10
	v_cndmask_b32_e32 v8, v2, v8, vcc
	v_cmp_gt_i32_e32 vcc, 31, v15
	v_lshl_or_b32 v6, v6, 9, v2
	v_cndmask_b32_e32 v14, v2, v14, vcc
	v_cmp_eq_u32_e32 vcc, s11, v10
	v_lshrrev_b32_e32 v11, 16, v11
	v_lshl_or_b32 v12, v12, 9, v2
	v_cndmask_b32_e32 v6, v8, v6, vcc
	v_cmp_eq_u32_e32 vcc, s11, v15
	v_lshrrev_b32_e32 v13, 16, v13
	v_cndmask_b32_e32 v8, v14, v12, vcc
	v_and_or_b32 v6, v11, s14, v6
	v_and_or_b32 v8, v13, s14, v8
	v_and_b32_e32 v6, 0xffff, v6
	v_lshl_or_b32 v6, v8, 16, v6
	global_store_dword v[0:1], v6, off
	global_load_dword v6, v[20:21], off offset:2044
	v_lshrrev_b32_e32 v8, 16, v9
	v_add_co_u32_e32 v0, vcc, s6, v0
	v_addc_co_u32_e32 v1, vcc, v1, v7, vcc
	s_waitcnt vmcnt(0)
	v_mul_f16_sdwa v10, v8, v6 dst_sel:DWORD dst_unused:UNUSED_PAD src0_sel:DWORD src1_sel:WORD_1
	v_fma_f16 v10, v9, v6, v10
	v_mul_f16_sdwa v9, v9, v6 dst_sel:DWORD dst_unused:UNUSED_PAD src0_sel:DWORD src1_sel:WORD_1
	v_cvt_f32_f16_e32 v10, v10
	v_fma_f16 v6, v6, v8, -v9
	v_cvt_f32_f16_e32 v6, v6
	v_cvt_f64_f32_e32 v[8:9], v10
	v_cvt_f64_f32_e32 v[10:11], v6
	v_mul_f64 v[8:9], v[8:9], s[12:13]
	v_mul_f64 v[10:11], v[10:11], s[12:13]
	v_and_or_b32 v6, v9, s15, v8
	v_cmp_ne_u32_e32 vcc, 0, v6
	v_and_or_b32 v10, v11, s15, v10
	v_lshrrev_b32_e32 v8, 8, v9
	v_bfe_u32 v12, v9, 20, 11
	v_cndmask_b32_e64 v6, 0, 1, vcc
	v_cmp_ne_u32_e32 vcc, 0, v10
	v_lshrrev_b32_e32 v13, 8, v11
	v_bfe_u32 v14, v11, 20, 11
	v_sub_u32_e32 v15, 0x3f1, v12
	v_cndmask_b32_e64 v10, 0, 1, vcc
	v_and_or_b32 v6, v8, s10, v6
	v_sub_u32_e32 v16, 0x3f1, v14
	v_med3_i32 v8, v15, 0, 13
	v_and_or_b32 v10, v13, s10, v10
	v_or_b32_e32 v15, 0x1000, v6
	v_add_u32_e32 v12, 0xfffffc10, v12
	v_med3_i32 v13, v16, 0, 13
	v_cmp_ne_u32_e32 vcc, 0, v6
	v_or_b32_e32 v17, 0x1000, v10
	v_lshrrev_b32_e32 v19, v8, v15
	v_add_u32_e32 v14, 0xfffffc10, v14
	v_lshl_or_b32 v16, v12, 12, v6
	v_cndmask_b32_e64 v6, 0, 1, vcc
	v_cmp_ne_u32_e32 vcc, 0, v10
	v_lshrrev_b32_e32 v22, v13, v17
	v_lshlrev_b32_e32 v8, v8, v19
	v_lshl_or_b32 v18, v14, 12, v10
	v_cndmask_b32_e64 v10, 0, 1, vcc
	v_lshlrev_b32_e32 v13, v13, v22
	v_cmp_ne_u32_e32 vcc, v8, v15
	v_cndmask_b32_e64 v8, 0, 1, vcc
	v_cmp_ne_u32_e32 vcc, v13, v17
	v_cndmask_b32_e64 v13, 0, 1, vcc
	v_or_b32_e32 v8, v19, v8
	v_cmp_gt_i32_e32 vcc, 1, v12
	v_cndmask_b32_e32 v8, v16, v8, vcc
	v_or_b32_e32 v13, v22, v13
	v_cmp_gt_i32_e32 vcc, 1, v14
	v_and_b32_e32 v15, 7, v8
	v_cndmask_b32_e32 v13, v18, v13, vcc
	v_cmp_lt_i32_e32 vcc, 5, v15
	v_cmp_eq_u32_e64 s[0:1], 3, v15
	v_lshrrev_b32_e32 v8, 2, v8
	v_and_b32_e32 v16, 7, v13
	s_or_b64 vcc, s[0:1], vcc
	v_cmp_lt_i32_e64 s[2:3], 5, v16
	v_cmp_eq_u32_e64 s[4:5], 3, v16
	v_addc_co_u32_e32 v8, vcc, 0, v8, vcc
	v_lshrrev_b32_e32 v13, 2, v13
	s_or_b64 vcc, s[4:5], s[2:3]
	v_addc_co_u32_e32 v13, vcc, 0, v13, vcc
	v_cmp_gt_i32_e32 vcc, 31, v12
	v_cndmask_b32_e32 v8, v2, v8, vcc
	v_cmp_gt_i32_e32 vcc, 31, v14
	v_lshl_or_b32 v6, v6, 9, v2
	v_cndmask_b32_e32 v13, v2, v13, vcc
	v_cmp_eq_u32_e32 vcc, s11, v12
	v_lshrrev_b32_e32 v9, 16, v9
	v_lshl_or_b32 v10, v10, 9, v2
	v_cndmask_b32_e32 v6, v8, v6, vcc
	v_cmp_eq_u32_e32 vcc, s11, v14
	v_lshrrev_b32_e32 v11, 16, v11
	v_cndmask_b32_e32 v8, v13, v10, vcc
	v_and_or_b32 v6, v9, s14, v6
	v_and_or_b32 v8, v11, s14, v8
	v_and_b32_e32 v6, 0xffff, v6
	v_lshl_or_b32 v6, v8, 16, v6
	global_store_dword v[0:1], v6, off
	global_load_dword v8, v[20:21], off offset:2464
	ds_read2_b32 v[5:6], v5 offset0:104 offset1:209
	v_add_co_u32_e32 v0, vcc, s6, v0
	v_addc_co_u32_e32 v1, vcc, v1, v7, vcc
	s_waitcnt lgkmcnt(0)
	v_lshrrev_b32_e32 v9, 16, v5
	s_waitcnt vmcnt(0)
	v_mul_f16_sdwa v10, v9, v8 dst_sel:DWORD dst_unused:UNUSED_PAD src0_sel:DWORD src1_sel:WORD_1
	v_fma_f16 v10, v5, v8, v10
	v_mul_f16_sdwa v5, v5, v8 dst_sel:DWORD dst_unused:UNUSED_PAD src0_sel:DWORD src1_sel:WORD_1
	v_cvt_f32_f16_e32 v10, v10
	v_fma_f16 v5, v8, v9, -v5
	v_cvt_f32_f16_e32 v5, v5
	v_cvt_f64_f32_e32 v[8:9], v10
	v_cvt_f64_f32_e32 v[10:11], v5
	v_mul_f64 v[8:9], v[8:9], s[12:13]
	v_mul_f64 v[10:11], v[10:11], s[12:13]
	v_and_or_b32 v5, v9, s15, v8
	v_cmp_ne_u32_e32 vcc, 0, v5
	v_and_or_b32 v10, v11, s15, v10
	v_lshrrev_b32_e32 v8, 8, v9
	v_bfe_u32 v12, v9, 20, 11
	v_cndmask_b32_e64 v5, 0, 1, vcc
	v_cmp_ne_u32_e32 vcc, 0, v10
	v_lshrrev_b32_e32 v13, 8, v11
	v_bfe_u32 v14, v11, 20, 11
	v_sub_u32_e32 v15, 0x3f1, v12
	v_cndmask_b32_e64 v10, 0, 1, vcc
	v_and_or_b32 v5, v8, s10, v5
	v_sub_u32_e32 v16, 0x3f1, v14
	v_med3_i32 v8, v15, 0, 13
	v_and_or_b32 v10, v13, s10, v10
	v_or_b32_e32 v15, 0x1000, v5
	v_add_u32_e32 v12, 0xfffffc10, v12
	v_med3_i32 v13, v16, 0, 13
	v_cmp_ne_u32_e32 vcc, 0, v5
	v_or_b32_e32 v17, 0x1000, v10
	v_lshrrev_b32_e32 v19, v8, v15
	v_add_u32_e32 v14, 0xfffffc10, v14
	v_lshl_or_b32 v16, v12, 12, v5
	v_cndmask_b32_e64 v5, 0, 1, vcc
	v_cmp_ne_u32_e32 vcc, 0, v10
	v_lshrrev_b32_e32 v22, v13, v17
	v_lshlrev_b32_e32 v8, v8, v19
	v_lshl_or_b32 v18, v14, 12, v10
	v_cndmask_b32_e64 v10, 0, 1, vcc
	v_lshlrev_b32_e32 v13, v13, v22
	v_cmp_ne_u32_e32 vcc, v8, v15
	v_cndmask_b32_e64 v8, 0, 1, vcc
	v_cmp_ne_u32_e32 vcc, v13, v17
	v_cndmask_b32_e64 v13, 0, 1, vcc
	v_or_b32_e32 v8, v19, v8
	v_cmp_gt_i32_e32 vcc, 1, v12
	v_cndmask_b32_e32 v8, v16, v8, vcc
	v_or_b32_e32 v13, v22, v13
	v_cmp_gt_i32_e32 vcc, 1, v14
	v_and_b32_e32 v15, 7, v8
	v_cndmask_b32_e32 v13, v18, v13, vcc
	v_cmp_lt_i32_e32 vcc, 5, v15
	v_cmp_eq_u32_e64 s[0:1], 3, v15
	v_lshrrev_b32_e32 v8, 2, v8
	v_and_b32_e32 v16, 7, v13
	s_or_b64 vcc, s[0:1], vcc
	v_cmp_lt_i32_e64 s[2:3], 5, v16
	v_cmp_eq_u32_e64 s[4:5], 3, v16
	v_addc_co_u32_e32 v8, vcc, 0, v8, vcc
	v_lshrrev_b32_e32 v13, 2, v13
	s_or_b64 vcc, s[4:5], s[2:3]
	v_addc_co_u32_e32 v13, vcc, 0, v13, vcc
	v_cmp_gt_i32_e32 vcc, 31, v12
	v_cndmask_b32_e32 v8, v2, v8, vcc
	v_cmp_gt_i32_e32 vcc, 31, v14
	v_lshl_or_b32 v5, v5, 9, v2
	v_cndmask_b32_e32 v13, v2, v13, vcc
	v_cmp_eq_u32_e32 vcc, s11, v12
	v_lshrrev_b32_e32 v9, 16, v9
	v_lshl_or_b32 v10, v10, 9, v2
	v_cndmask_b32_e32 v5, v8, v5, vcc
	v_cmp_eq_u32_e32 vcc, s11, v14
	v_lshrrev_b32_e32 v11, 16, v11
	v_cndmask_b32_e32 v8, v13, v10, vcc
	v_and_or_b32 v5, v9, s14, v5
	v_and_or_b32 v8, v11, s14, v8
	v_and_b32_e32 v5, 0xffff, v5
	v_lshl_or_b32 v5, v8, 16, v5
	global_store_dword v[0:1], v5, off
	global_load_dword v5, v[20:21], off offset:2884
	v_lshrrev_b32_e32 v8, 16, v6
	v_add_co_u32_e32 v0, vcc, s6, v0
	v_addc_co_u32_e32 v1, vcc, v1, v7, vcc
	s_waitcnt vmcnt(0)
	v_mul_f16_sdwa v9, v8, v5 dst_sel:DWORD dst_unused:UNUSED_PAD src0_sel:DWORD src1_sel:WORD_1
	v_fma_f16 v9, v6, v5, v9
	v_mul_f16_sdwa v6, v6, v5 dst_sel:DWORD dst_unused:UNUSED_PAD src0_sel:DWORD src1_sel:WORD_1
	v_cvt_f32_f16_e32 v9, v9
	v_fma_f16 v5, v5, v8, -v6
	v_cvt_f32_f16_e32 v8, v5
	v_cvt_f64_f32_e32 v[5:6], v9
	v_cvt_f64_f32_e32 v[8:9], v8
	v_mul_f64 v[5:6], v[5:6], s[12:13]
	v_mul_f64 v[8:9], v[8:9], s[12:13]
	v_and_or_b32 v5, v6, s15, v5
	v_cmp_ne_u32_e32 vcc, 0, v5
	v_and_or_b32 v8, v9, s15, v8
	v_lshrrev_b32_e32 v10, 8, v6
	v_bfe_u32 v11, v6, 20, 11
	v_cndmask_b32_e64 v5, 0, 1, vcc
	v_cmp_ne_u32_e32 vcc, 0, v8
	v_lshrrev_b32_e32 v12, 8, v9
	v_bfe_u32 v13, v9, 20, 11
	v_sub_u32_e32 v14, 0x3f1, v11
	v_cndmask_b32_e64 v8, 0, 1, vcc
	v_and_or_b32 v5, v10, s10, v5
	v_sub_u32_e32 v15, 0x3f1, v13
	v_med3_i32 v10, v14, 0, 13
	v_and_or_b32 v8, v12, s10, v8
	v_or_b32_e32 v14, 0x1000, v5
	v_add_u32_e32 v11, 0xfffffc10, v11
	v_med3_i32 v12, v15, 0, 13
	v_cmp_ne_u32_e32 vcc, 0, v5
	v_or_b32_e32 v16, 0x1000, v8
	v_lshrrev_b32_e32 v18, v10, v14
	v_add_u32_e32 v13, 0xfffffc10, v13
	v_lshl_or_b32 v15, v11, 12, v5
	v_cndmask_b32_e64 v5, 0, 1, vcc
	v_cmp_ne_u32_e32 vcc, 0, v8
	v_lshrrev_b32_e32 v19, v12, v16
	v_lshlrev_b32_e32 v10, v10, v18
	v_lshl_or_b32 v17, v13, 12, v8
	v_cndmask_b32_e64 v8, 0, 1, vcc
	v_lshlrev_b32_e32 v12, v12, v19
	v_cmp_ne_u32_e32 vcc, v10, v14
	v_cndmask_b32_e64 v10, 0, 1, vcc
	v_cmp_ne_u32_e32 vcc, v12, v16
	v_cndmask_b32_e64 v12, 0, 1, vcc
	v_or_b32_e32 v10, v18, v10
	v_cmp_gt_i32_e32 vcc, 1, v11
	v_cndmask_b32_e32 v10, v15, v10, vcc
	v_or_b32_e32 v12, v19, v12
	v_cmp_gt_i32_e32 vcc, 1, v13
	v_and_b32_e32 v14, 7, v10
	v_cndmask_b32_e32 v12, v17, v12, vcc
	v_cmp_lt_i32_e32 vcc, 5, v14
	v_cmp_eq_u32_e64 s[0:1], 3, v14
	v_lshrrev_b32_e32 v10, 2, v10
	v_and_b32_e32 v15, 7, v12
	s_or_b64 vcc, s[0:1], vcc
	v_cmp_lt_i32_e64 s[2:3], 5, v15
	v_cmp_eq_u32_e64 s[4:5], 3, v15
	v_addc_co_u32_e32 v10, vcc, 0, v10, vcc
	v_lshrrev_b32_e32 v12, 2, v12
	s_or_b64 vcc, s[4:5], s[2:3]
	v_addc_co_u32_e32 v12, vcc, 0, v12, vcc
	v_cmp_gt_i32_e32 vcc, 31, v11
	v_cndmask_b32_e32 v10, v2, v10, vcc
	v_cmp_gt_i32_e32 vcc, 31, v13
	v_lshl_or_b32 v5, v5, 9, v2
	v_cndmask_b32_e32 v12, v2, v12, vcc
	v_cmp_eq_u32_e32 vcc, s11, v11
	v_lshrrev_b32_e32 v6, 16, v6
	v_lshl_or_b32 v8, v8, 9, v2
	v_cndmask_b32_e32 v5, v10, v5, vcc
	v_cmp_eq_u32_e32 vcc, s11, v13
	v_lshrrev_b32_e32 v9, 16, v9
	v_cndmask_b32_e32 v8, v12, v8, vcc
	v_and_or_b32 v5, v6, s14, v5
	v_and_or_b32 v6, v9, s14, v8
	v_and_b32_e32 v5, 0xffff, v5
	v_lshl_or_b32 v5, v6, 16, v5
	global_store_dword v[0:1], v5, off
	global_load_dword v6, v[20:21], off offset:3304
	ds_read2_b32 v[4:5], v4 offset0:58 offset1:163
	v_add_co_u32_e32 v12, vcc, s6, v0
	v_addc_co_u32_e32 v13, vcc, v1, v7, vcc
	s_waitcnt lgkmcnt(0)
	v_lshrrev_b32_e32 v8, 16, v4
	s_waitcnt vmcnt(0)
	v_mul_f16_sdwa v9, v8, v6 dst_sel:DWORD dst_unused:UNUSED_PAD src0_sel:DWORD src1_sel:WORD_1
	v_fma_f16 v9, v4, v6, v9
	v_mul_f16_sdwa v4, v4, v6 dst_sel:DWORD dst_unused:UNUSED_PAD src0_sel:DWORD src1_sel:WORD_1
	v_cvt_f32_f16_e32 v9, v9
	v_fma_f16 v4, v6, v8, -v4
	v_cvt_f32_f16_e32 v4, v4
	v_cvt_f64_f32_e32 v[8:9], v9
	v_cvt_f64_f32_e32 v[10:11], v4
	v_mul_f64 v[8:9], v[8:9], s[12:13]
	v_mul_f64 v[10:11], v[10:11], s[12:13]
	v_and_or_b32 v0, v9, s15, v8
	v_cmp_ne_u32_e32 vcc, 0, v0
	v_and_or_b32 v8, v11, s15, v10
	v_lshrrev_b32_e32 v1, 8, v9
	v_bfe_u32 v4, v9, 20, 11
	v_cndmask_b32_e64 v0, 0, 1, vcc
	v_cmp_ne_u32_e32 vcc, 0, v8
	v_lshrrev_b32_e32 v6, 16, v9
	v_lshrrev_b32_e32 v9, 8, v11
	v_bfe_u32 v10, v11, 20, 11
	v_sub_u32_e32 v14, 0x3f1, v4
	v_cndmask_b32_e64 v8, 0, 1, vcc
	v_and_or_b32 v0, v1, s10, v0
	v_sub_u32_e32 v15, 0x3f1, v10
	v_med3_i32 v1, v14, 0, 13
	v_and_or_b32 v8, v9, s10, v8
	v_or_b32_e32 v14, 0x1000, v0
	v_add_u32_e32 v4, 0xfffffc10, v4
	v_med3_i32 v9, v15, 0, 13
	v_cmp_ne_u32_e32 vcc, 0, v0
	v_or_b32_e32 v16, 0x1000, v8
	v_lshrrev_b32_e32 v18, v1, v14
	v_add_u32_e32 v10, 0xfffffc10, v10
	v_lshl_or_b32 v15, v4, 12, v0
	v_cndmask_b32_e64 v0, 0, 1, vcc
	v_cmp_ne_u32_e32 vcc, 0, v8
	v_lshrrev_b32_e32 v19, v9, v16
	v_lshlrev_b32_e32 v1, v1, v18
	v_lshl_or_b32 v17, v10, 12, v8
	v_cndmask_b32_e64 v8, 0, 1, vcc
	v_lshlrev_b32_e32 v9, v9, v19
	v_cmp_ne_u32_e32 vcc, v1, v14
	v_cndmask_b32_e64 v1, 0, 1, vcc
	v_cmp_ne_u32_e32 vcc, v9, v16
	v_cndmask_b32_e64 v9, 0, 1, vcc
	v_or_b32_e32 v1, v18, v1
	v_cmp_gt_i32_e32 vcc, 1, v4
	v_cndmask_b32_e32 v1, v15, v1, vcc
	v_or_b32_e32 v9, v19, v9
	v_cmp_gt_i32_e32 vcc, 1, v10
	v_and_b32_e32 v14, 7, v1
	v_cndmask_b32_e32 v9, v17, v9, vcc
	v_cmp_lt_i32_e32 vcc, 5, v14
	v_cmp_eq_u32_e64 s[0:1], 3, v14
	v_lshrrev_b32_e32 v1, 2, v1
	v_and_b32_e32 v15, 7, v9
	s_or_b64 vcc, s[0:1], vcc
	v_cmp_lt_i32_e64 s[2:3], 5, v15
	v_cmp_eq_u32_e64 s[4:5], 3, v15
	v_addc_co_u32_e32 v1, vcc, 0, v1, vcc
	v_lshrrev_b32_e32 v9, 2, v9
	s_or_b64 vcc, s[4:5], s[2:3]
	v_addc_co_u32_e32 v9, vcc, 0, v9, vcc
	v_cmp_gt_i32_e32 vcc, 31, v4
	v_cndmask_b32_e32 v1, v2, v1, vcc
	v_cmp_gt_i32_e32 vcc, 31, v10
	v_lshl_or_b32 v0, v0, 9, v2
	v_cndmask_b32_e32 v9, v2, v9, vcc
	v_cmp_eq_u32_e32 vcc, s11, v4
	v_lshl_or_b32 v8, v8, 9, v2
	v_cndmask_b32_e32 v0, v1, v0, vcc
	v_cmp_eq_u32_e32 vcc, s11, v10
	v_lshrrev_b32_e32 v11, 16, v11
	v_cndmask_b32_e32 v1, v9, v8, vcc
	v_and_or_b32 v0, v6, s14, v0
	v_and_or_b32 v1, v11, s14, v1
	v_and_b32_e32 v0, 0xffff, v0
	v_lshl_or_b32 v0, v1, 16, v0
	global_store_dword v[12:13], v0, off
	global_load_dword v0, v[20:21], off offset:3724
	v_lshrrev_b32_e32 v1, 16, v5
	s_waitcnt vmcnt(0)
	v_mul_f16_sdwa v4, v1, v0 dst_sel:DWORD dst_unused:UNUSED_PAD src0_sel:DWORD src1_sel:WORD_1
	v_fma_f16 v4, v5, v0, v4
	v_mul_f16_sdwa v5, v5, v0 dst_sel:DWORD dst_unused:UNUSED_PAD src0_sel:DWORD src1_sel:WORD_1
	v_cvt_f32_f16_e32 v4, v4
	v_fma_f16 v0, v0, v1, -v5
	v_cvt_f32_f16_e32 v5, v0
	v_cvt_f64_f32_e32 v[0:1], v4
	v_cvt_f64_f32_e32 v[4:5], v5
	v_mul_f64 v[8:9], v[0:1], s[12:13]
	v_add_co_u32_e32 v0, vcc, s16, v20
	v_mul_f64 v[4:5], v[4:5], s[12:13]
	v_addc_co_u32_e32 v1, vcc, 0, v21, vcc
	v_add_co_u32_e32 v10, vcc, s6, v12
	v_addc_co_u32_e32 v11, vcc, v13, v7, vcc
	v_and_or_b32 v6, v9, s15, v8
	v_and_or_b32 v4, v5, s15, v4
	v_cmp_ne_u32_e32 vcc, 0, v6
	v_lshrrev_b32_e32 v8, 8, v9
	v_bfe_u32 v12, v9, 20, 11
	v_cndmask_b32_e64 v6, 0, 1, vcc
	v_cmp_ne_u32_e32 vcc, 0, v4
	v_lshrrev_b32_e32 v13, 8, v5
	v_bfe_u32 v14, v5, 20, 11
	v_sub_u32_e32 v15, 0x3f1, v12
	v_cndmask_b32_e64 v4, 0, 1, vcc
	v_and_or_b32 v6, v8, s10, v6
	v_sub_u32_e32 v16, 0x3f1, v14
	v_med3_i32 v8, v15, 0, 13
	v_and_or_b32 v4, v13, s10, v4
	v_or_b32_e32 v15, 0x1000, v6
	v_add_u32_e32 v12, 0xfffffc10, v12
	v_med3_i32 v13, v16, 0, 13
	v_cmp_ne_u32_e32 vcc, 0, v6
	v_or_b32_e32 v17, 0x1000, v4
	v_lshrrev_b32_e32 v19, v8, v15
	v_add_u32_e32 v14, 0xfffffc10, v14
	v_lshl_or_b32 v16, v12, 12, v6
	v_cndmask_b32_e64 v6, 0, 1, vcc
	v_cmp_ne_u32_e32 vcc, 0, v4
	v_lshrrev_b32_e32 v20, v13, v17
	v_lshlrev_b32_e32 v8, v8, v19
	v_lshl_or_b32 v18, v14, 12, v4
	v_cndmask_b32_e64 v4, 0, 1, vcc
	v_lshlrev_b32_e32 v13, v13, v20
	v_cmp_ne_u32_e32 vcc, v8, v15
	v_cndmask_b32_e64 v8, 0, 1, vcc
	v_cmp_ne_u32_e32 vcc, v13, v17
	v_cndmask_b32_e64 v13, 0, 1, vcc
	v_or_b32_e32 v8, v19, v8
	v_cmp_gt_i32_e32 vcc, 1, v12
	v_cndmask_b32_e32 v8, v16, v8, vcc
	v_or_b32_e32 v13, v20, v13
	v_cmp_gt_i32_e32 vcc, 1, v14
	v_and_b32_e32 v15, 7, v8
	v_cndmask_b32_e32 v13, v18, v13, vcc
	v_cmp_lt_i32_e32 vcc, 5, v15
	v_cmp_eq_u32_e64 s[0:1], 3, v15
	v_lshrrev_b32_e32 v8, 2, v8
	v_and_b32_e32 v16, 7, v13
	s_or_b64 vcc, s[0:1], vcc
	v_cmp_lt_i32_e64 s[2:3], 5, v16
	v_cmp_eq_u32_e64 s[4:5], 3, v16
	v_addc_co_u32_e32 v8, vcc, 0, v8, vcc
	v_lshrrev_b32_e32 v13, 2, v13
	s_or_b64 vcc, s[4:5], s[2:3]
	v_addc_co_u32_e32 v13, vcc, 0, v13, vcc
	v_cmp_gt_i32_e32 vcc, 31, v12
	v_cndmask_b32_e32 v8, v2, v8, vcc
	v_cmp_gt_i32_e32 vcc, 31, v14
	v_lshl_or_b32 v6, v6, 9, v2
	v_cndmask_b32_e32 v13, v2, v13, vcc
	v_cmp_eq_u32_e32 vcc, s11, v12
	v_lshrrev_b32_e32 v9, 16, v9
	v_lshl_or_b32 v4, v4, 9, v2
	v_cndmask_b32_e32 v6, v8, v6, vcc
	v_cmp_eq_u32_e32 vcc, s11, v14
	v_lshrrev_b32_e32 v5, 16, v5
	v_cndmask_b32_e32 v4, v13, v4, vcc
	v_and_or_b32 v6, v9, s14, v6
	v_and_or_b32 v4, v5, s14, v4
	v_and_b32_e32 v5, 0xffff, v6
	v_lshl_or_b32 v4, v4, 16, v5
	global_store_dword v[10:11], v4, off
	global_load_dword v5, v[0:1], off offset:48
	ds_read2_b32 v[3:4], v3 offset0:12 offset1:117
	v_add_co_u32_e32 v10, vcc, s6, v10
	v_addc_co_u32_e32 v11, vcc, v11, v7, vcc
	s_waitcnt lgkmcnt(0)
	v_lshrrev_b32_e32 v6, 16, v3
	s_waitcnt vmcnt(0)
	v_mul_f16_sdwa v8, v6, v5 dst_sel:DWORD dst_unused:UNUSED_PAD src0_sel:DWORD src1_sel:WORD_1
	v_fma_f16 v8, v3, v5, v8
	v_mul_f16_sdwa v3, v3, v5 dst_sel:DWORD dst_unused:UNUSED_PAD src0_sel:DWORD src1_sel:WORD_1
	v_cvt_f32_f16_e32 v8, v8
	v_fma_f16 v3, v5, v6, -v3
	v_cvt_f32_f16_e32 v3, v3
	v_cvt_f64_f32_e32 v[5:6], v8
	v_cvt_f64_f32_e32 v[8:9], v3
	v_mul_f64 v[5:6], v[5:6], s[12:13]
	v_mul_f64 v[8:9], v[8:9], s[12:13]
	v_and_or_b32 v3, v6, s15, v5
	v_cmp_ne_u32_e32 vcc, 0, v3
	v_and_or_b32 v8, v9, s15, v8
	v_lshrrev_b32_e32 v5, 8, v6
	v_bfe_u32 v12, v6, 20, 11
	v_cndmask_b32_e64 v3, 0, 1, vcc
	v_cmp_ne_u32_e32 vcc, 0, v8
	v_lshrrev_b32_e32 v13, 8, v9
	v_bfe_u32 v14, v9, 20, 11
	v_sub_u32_e32 v15, 0x3f1, v12
	v_cndmask_b32_e64 v8, 0, 1, vcc
	v_and_or_b32 v3, v5, s10, v3
	v_sub_u32_e32 v16, 0x3f1, v14
	v_med3_i32 v5, v15, 0, 13
	v_and_or_b32 v8, v13, s10, v8
	v_or_b32_e32 v15, 0x1000, v3
	v_add_u32_e32 v12, 0xfffffc10, v12
	v_med3_i32 v13, v16, 0, 13
	v_cmp_ne_u32_e32 vcc, 0, v3
	v_or_b32_e32 v17, 0x1000, v8
	v_lshrrev_b32_e32 v19, v5, v15
	v_add_u32_e32 v14, 0xfffffc10, v14
	v_lshl_or_b32 v16, v12, 12, v3
	v_cndmask_b32_e64 v3, 0, 1, vcc
	v_cmp_ne_u32_e32 vcc, 0, v8
	v_lshrrev_b32_e32 v20, v13, v17
	v_lshlrev_b32_e32 v5, v5, v19
	v_lshl_or_b32 v18, v14, 12, v8
	v_cndmask_b32_e64 v8, 0, 1, vcc
	v_lshlrev_b32_e32 v13, v13, v20
	v_cmp_ne_u32_e32 vcc, v5, v15
	v_cndmask_b32_e64 v5, 0, 1, vcc
	v_cmp_ne_u32_e32 vcc, v13, v17
	v_cndmask_b32_e64 v13, 0, 1, vcc
	v_or_b32_e32 v5, v19, v5
	v_cmp_gt_i32_e32 vcc, 1, v12
	v_cndmask_b32_e32 v5, v16, v5, vcc
	v_or_b32_e32 v13, v20, v13
	v_cmp_gt_i32_e32 vcc, 1, v14
	v_and_b32_e32 v15, 7, v5
	v_cndmask_b32_e32 v13, v18, v13, vcc
	v_cmp_lt_i32_e32 vcc, 5, v15
	v_cmp_eq_u32_e64 s[0:1], 3, v15
	v_lshrrev_b32_e32 v5, 2, v5
	v_and_b32_e32 v16, 7, v13
	s_or_b64 vcc, s[0:1], vcc
	v_cmp_lt_i32_e64 s[2:3], 5, v16
	v_cmp_eq_u32_e64 s[4:5], 3, v16
	v_addc_co_u32_e32 v5, vcc, 0, v5, vcc
	v_lshrrev_b32_e32 v13, 2, v13
	s_or_b64 vcc, s[4:5], s[2:3]
	v_addc_co_u32_e32 v13, vcc, 0, v13, vcc
	v_cmp_gt_i32_e32 vcc, 31, v12
	v_cndmask_b32_e32 v5, v2, v5, vcc
	v_cmp_gt_i32_e32 vcc, 31, v14
	v_lshl_or_b32 v3, v3, 9, v2
	v_cndmask_b32_e32 v13, v2, v13, vcc
	v_cmp_eq_u32_e32 vcc, s11, v12
	v_lshrrev_b32_e32 v6, 16, v6
	v_lshl_or_b32 v8, v8, 9, v2
	v_cndmask_b32_e32 v3, v5, v3, vcc
	v_cmp_eq_u32_e32 vcc, s11, v14
	v_lshrrev_b32_e32 v9, 16, v9
	v_cndmask_b32_e32 v5, v13, v8, vcc
	v_and_or_b32 v3, v6, s14, v3
	v_and_or_b32 v5, v9, s14, v5
	v_and_b32_e32 v3, 0xffff, v3
	v_lshl_or_b32 v3, v5, 16, v3
	global_store_dword v[10:11], v3, off
	global_load_dword v3, v[0:1], off offset:468
	v_lshrrev_b32_e32 v5, 16, v4
	v_add_co_u32_e32 v8, vcc, s6, v10
	v_addc_co_u32_e32 v9, vcc, v11, v7, vcc
	s_waitcnt vmcnt(0)
	v_mul_f16_sdwa v6, v5, v3 dst_sel:DWORD dst_unused:UNUSED_PAD src0_sel:DWORD src1_sel:WORD_1
	v_fma_f16 v6, v4, v3, v6
	v_mul_f16_sdwa v4, v4, v3 dst_sel:DWORD dst_unused:UNUSED_PAD src0_sel:DWORD src1_sel:WORD_1
	v_cvt_f32_f16_e32 v6, v6
	v_fma_f16 v3, v3, v5, -v4
	v_cvt_f32_f16_e32 v5, v3
	v_cvt_f64_f32_e32 v[3:4], v6
	v_cvt_f64_f32_e32 v[5:6], v5
	v_mul_f64 v[3:4], v[3:4], s[12:13]
	v_mul_f64 v[5:6], v[5:6], s[12:13]
	v_and_or_b32 v3, v4, s15, v3
	v_cmp_ne_u32_e32 vcc, 0, v3
	v_and_or_b32 v5, v6, s15, v5
	v_lshrrev_b32_e32 v10, 8, v4
	v_bfe_u32 v11, v4, 20, 11
	v_cndmask_b32_e64 v3, 0, 1, vcc
	v_cmp_ne_u32_e32 vcc, 0, v5
	v_lshrrev_b32_e32 v12, 8, v6
	v_bfe_u32 v13, v6, 20, 11
	v_sub_u32_e32 v14, 0x3f1, v11
	v_cndmask_b32_e64 v5, 0, 1, vcc
	v_and_or_b32 v3, v10, s10, v3
	v_sub_u32_e32 v15, 0x3f1, v13
	v_med3_i32 v10, v14, 0, 13
	v_and_or_b32 v5, v12, s10, v5
	v_or_b32_e32 v14, 0x1000, v3
	v_add_u32_e32 v11, 0xfffffc10, v11
	v_med3_i32 v12, v15, 0, 13
	v_cmp_ne_u32_e32 vcc, 0, v3
	v_or_b32_e32 v16, 0x1000, v5
	v_lshrrev_b32_e32 v18, v10, v14
	v_add_u32_e32 v13, 0xfffffc10, v13
	v_lshl_or_b32 v15, v11, 12, v3
	v_cndmask_b32_e64 v3, 0, 1, vcc
	v_cmp_ne_u32_e32 vcc, 0, v5
	v_lshrrev_b32_e32 v19, v12, v16
	v_lshlrev_b32_e32 v10, v10, v18
	v_lshl_or_b32 v17, v13, 12, v5
	v_cndmask_b32_e64 v5, 0, 1, vcc
	v_lshlrev_b32_e32 v12, v12, v19
	v_cmp_ne_u32_e32 vcc, v10, v14
	v_cndmask_b32_e64 v10, 0, 1, vcc
	v_cmp_ne_u32_e32 vcc, v12, v16
	v_cndmask_b32_e64 v12, 0, 1, vcc
	v_or_b32_e32 v10, v18, v10
	v_cmp_gt_i32_e32 vcc, 1, v11
	v_cndmask_b32_e32 v10, v15, v10, vcc
	v_or_b32_e32 v12, v19, v12
	v_cmp_gt_i32_e32 vcc, 1, v13
	v_and_b32_e32 v14, 7, v10
	v_cndmask_b32_e32 v12, v17, v12, vcc
	v_cmp_lt_i32_e32 vcc, 5, v14
	v_cmp_eq_u32_e64 s[0:1], 3, v14
	v_lshrrev_b32_e32 v10, 2, v10
	v_and_b32_e32 v15, 7, v12
	s_or_b64 vcc, s[0:1], vcc
	v_cmp_lt_i32_e64 s[2:3], 5, v15
	v_cmp_eq_u32_e64 s[4:5], 3, v15
	v_addc_co_u32_e32 v10, vcc, 0, v10, vcc
	v_lshrrev_b32_e32 v12, 2, v12
	s_or_b64 vcc, s[4:5], s[2:3]
	v_addc_co_u32_e32 v12, vcc, 0, v12, vcc
	v_cmp_gt_i32_e32 vcc, 31, v11
	v_cndmask_b32_e32 v10, v2, v10, vcc
	v_cmp_gt_i32_e32 vcc, 31, v13
	v_lshl_or_b32 v3, v3, 9, v2
	v_cndmask_b32_e32 v12, v2, v12, vcc
	v_cmp_eq_u32_e32 vcc, s11, v11
	v_lshrrev_b32_e32 v4, 16, v4
	v_lshl_or_b32 v5, v5, 9, v2
	v_cndmask_b32_e32 v3, v10, v3, vcc
	v_cmp_eq_u32_e32 vcc, s11, v13
	v_lshrrev_b32_e32 v6, 16, v6
	v_cndmask_b32_e32 v5, v12, v5, vcc
	v_and_or_b32 v3, v4, s14, v3
	v_and_or_b32 v4, v6, s14, v5
	v_and_b32_e32 v3, 0xffff, v3
	v_lshl_or_b32 v3, v4, 16, v3
	global_store_dword v[8:9], v3, off
	global_load_dword v5, v[0:1], off offset:888
	v_add_u32_e32 v3, 0x1200, v69
	ds_read2_b32 v[3:4], v3 offset0:94 offset1:199
	v_add_co_u32_e32 v8, vcc, s6, v8
	v_addc_co_u32_e32 v9, vcc, v9, v7, vcc
	s_waitcnt lgkmcnt(0)
	v_lshrrev_b32_e32 v6, 16, v3
	s_waitcnt vmcnt(0)
	v_mul_f16_sdwa v10, v6, v5 dst_sel:DWORD dst_unused:UNUSED_PAD src0_sel:DWORD src1_sel:WORD_1
	v_fma_f16 v10, v3, v5, v10
	v_mul_f16_sdwa v3, v3, v5 dst_sel:DWORD dst_unused:UNUSED_PAD src0_sel:DWORD src1_sel:WORD_1
	v_cvt_f32_f16_e32 v10, v10
	v_fma_f16 v3, v5, v6, -v3
	v_cvt_f32_f16_e32 v3, v3
	v_cvt_f64_f32_e32 v[5:6], v10
	v_cvt_f64_f32_e32 v[10:11], v3
	v_mul_f64 v[5:6], v[5:6], s[12:13]
	v_mul_f64 v[10:11], v[10:11], s[12:13]
	v_and_or_b32 v3, v6, s15, v5
	v_cmp_ne_u32_e32 vcc, 0, v3
	v_and_or_b32 v10, v11, s15, v10
	v_lshrrev_b32_e32 v5, 8, v6
	v_bfe_u32 v12, v6, 20, 11
	v_cndmask_b32_e64 v3, 0, 1, vcc
	v_cmp_ne_u32_e32 vcc, 0, v10
	v_lshrrev_b32_e32 v13, 8, v11
	v_bfe_u32 v14, v11, 20, 11
	v_sub_u32_e32 v15, 0x3f1, v12
	v_cndmask_b32_e64 v10, 0, 1, vcc
	v_and_or_b32 v3, v5, s10, v3
	v_sub_u32_e32 v16, 0x3f1, v14
	v_med3_i32 v5, v15, 0, 13
	v_and_or_b32 v10, v13, s10, v10
	v_or_b32_e32 v15, 0x1000, v3
	v_add_u32_e32 v12, 0xfffffc10, v12
	v_med3_i32 v13, v16, 0, 13
	v_cmp_ne_u32_e32 vcc, 0, v3
	v_or_b32_e32 v17, 0x1000, v10
	v_lshrrev_b32_e32 v19, v5, v15
	v_add_u32_e32 v14, 0xfffffc10, v14
	v_lshl_or_b32 v16, v12, 12, v3
	v_cndmask_b32_e64 v3, 0, 1, vcc
	v_cmp_ne_u32_e32 vcc, 0, v10
	v_lshrrev_b32_e32 v20, v13, v17
	v_lshlrev_b32_e32 v5, v5, v19
	v_lshl_or_b32 v18, v14, 12, v10
	v_cndmask_b32_e64 v10, 0, 1, vcc
	v_lshlrev_b32_e32 v13, v13, v20
	v_cmp_ne_u32_e32 vcc, v5, v15
	v_cndmask_b32_e64 v5, 0, 1, vcc
	v_cmp_ne_u32_e32 vcc, v13, v17
	v_cndmask_b32_e64 v13, 0, 1, vcc
	v_or_b32_e32 v5, v19, v5
	v_cmp_gt_i32_e32 vcc, 1, v12
	v_cndmask_b32_e32 v5, v16, v5, vcc
	v_or_b32_e32 v13, v20, v13
	v_cmp_gt_i32_e32 vcc, 1, v14
	v_and_b32_e32 v15, 7, v5
	v_cndmask_b32_e32 v13, v18, v13, vcc
	v_cmp_lt_i32_e32 vcc, 5, v15
	v_cmp_eq_u32_e64 s[0:1], 3, v15
	v_lshrrev_b32_e32 v5, 2, v5
	v_and_b32_e32 v16, 7, v13
	s_or_b64 vcc, s[0:1], vcc
	v_cmp_lt_i32_e64 s[2:3], 5, v16
	v_cmp_eq_u32_e64 s[4:5], 3, v16
	v_addc_co_u32_e32 v5, vcc, 0, v5, vcc
	v_lshrrev_b32_e32 v13, 2, v13
	s_or_b64 vcc, s[4:5], s[2:3]
	v_addc_co_u32_e32 v13, vcc, 0, v13, vcc
	v_cmp_gt_i32_e32 vcc, 31, v12
	v_cndmask_b32_e32 v5, v2, v5, vcc
	v_cmp_gt_i32_e32 vcc, 31, v14
	v_lshl_or_b32 v3, v3, 9, v2
	v_cndmask_b32_e32 v13, v2, v13, vcc
	v_cmp_eq_u32_e32 vcc, s11, v12
	v_lshrrev_b32_e32 v6, 16, v6
	v_lshl_or_b32 v10, v10, 9, v2
	v_cndmask_b32_e32 v3, v5, v3, vcc
	v_cmp_eq_u32_e32 vcc, s11, v14
	v_lshrrev_b32_e32 v11, 16, v11
	v_cndmask_b32_e32 v5, v13, v10, vcc
	v_and_or_b32 v3, v6, s14, v3
	v_and_or_b32 v5, v11, s14, v5
	v_and_b32_e32 v3, 0xffff, v3
	v_lshl_or_b32 v3, v5, 16, v3
	global_store_dword v[8:9], v3, off
	global_load_dword v0, v[0:1], off offset:1308
	v_lshrrev_b32_e32 v1, 16, v4
	s_waitcnt vmcnt(0)
	v_mul_f16_sdwa v3, v1, v0 dst_sel:DWORD dst_unused:UNUSED_PAD src0_sel:DWORD src1_sel:WORD_1
	v_fma_f16 v3, v4, v0, v3
	v_mul_f16_sdwa v4, v4, v0 dst_sel:DWORD dst_unused:UNUSED_PAD src0_sel:DWORD src1_sel:WORD_1
	v_cvt_f32_f16_e32 v3, v3
	v_fma_f16 v0, v0, v1, -v4
	v_cvt_f32_f16_e32 v4, v0
	v_cvt_f64_f32_e32 v[0:1], v3
	v_cvt_f64_f32_e32 v[3:4], v4
	v_mul_f64 v[0:1], v[0:1], s[12:13]
	v_mul_f64 v[3:4], v[3:4], s[12:13]
	v_and_or_b32 v0, v1, s15, v0
	v_cmp_ne_u32_e32 vcc, 0, v0
	v_and_or_b32 v3, v4, s15, v3
	v_lshrrev_b32_e32 v5, 8, v1
	v_bfe_u32 v6, v1, 20, 11
	v_cndmask_b32_e64 v0, 0, 1, vcc
	v_cmp_ne_u32_e32 vcc, 0, v3
	v_lshrrev_b32_e32 v10, 8, v4
	v_bfe_u32 v11, v4, 20, 11
	v_sub_u32_e32 v12, 0x3f1, v6
	v_cndmask_b32_e64 v3, 0, 1, vcc
	v_and_or_b32 v0, v5, s10, v0
	v_sub_u32_e32 v13, 0x3f1, v11
	v_med3_i32 v5, v12, 0, 13
	v_and_or_b32 v3, v10, s10, v3
	v_or_b32_e32 v12, 0x1000, v0
	v_add_u32_e32 v6, 0xfffffc10, v6
	v_med3_i32 v10, v13, 0, 13
	v_cmp_ne_u32_e32 vcc, 0, v0
	v_or_b32_e32 v14, 0x1000, v3
	v_lshrrev_b32_e32 v16, v5, v12
	v_add_u32_e32 v11, 0xfffffc10, v11
	v_lshl_or_b32 v13, v6, 12, v0
	v_cndmask_b32_e64 v0, 0, 1, vcc
	v_cmp_ne_u32_e32 vcc, 0, v3
	v_lshrrev_b32_e32 v17, v10, v14
	v_lshlrev_b32_e32 v5, v5, v16
	v_lshl_or_b32 v15, v11, 12, v3
	v_cndmask_b32_e64 v3, 0, 1, vcc
	v_lshlrev_b32_e32 v10, v10, v17
	v_cmp_ne_u32_e32 vcc, v5, v12
	v_cndmask_b32_e64 v5, 0, 1, vcc
	v_cmp_ne_u32_e32 vcc, v10, v14
	v_cndmask_b32_e64 v10, 0, 1, vcc
	v_or_b32_e32 v5, v16, v5
	v_cmp_gt_i32_e32 vcc, 1, v6
	v_cndmask_b32_e32 v5, v13, v5, vcc
	v_or_b32_e32 v10, v17, v10
	v_cmp_gt_i32_e32 vcc, 1, v11
	v_and_b32_e32 v12, 7, v5
	v_cndmask_b32_e32 v10, v15, v10, vcc
	v_cmp_lt_i32_e32 vcc, 5, v12
	v_cmp_eq_u32_e64 s[0:1], 3, v12
	v_lshrrev_b32_e32 v5, 2, v5
	v_and_b32_e32 v13, 7, v10
	s_or_b64 vcc, s[0:1], vcc
	v_cmp_lt_i32_e64 s[2:3], 5, v13
	v_cmp_eq_u32_e64 s[4:5], 3, v13
	v_addc_co_u32_e32 v5, vcc, 0, v5, vcc
	v_lshrrev_b32_e32 v10, 2, v10
	s_or_b64 vcc, s[4:5], s[2:3]
	v_addc_co_u32_e32 v10, vcc, 0, v10, vcc
	v_cmp_gt_i32_e32 vcc, 31, v6
	v_cndmask_b32_e32 v5, v2, v5, vcc
	v_cmp_gt_i32_e32 vcc, 31, v11
	v_lshl_or_b32 v0, v0, 9, v2
	v_lshl_or_b32 v3, v3, 9, v2
	v_cndmask_b32_e32 v2, v2, v10, vcc
	v_cmp_eq_u32_e32 vcc, s11, v6
	v_lshrrev_b32_e32 v1, 16, v1
	v_cndmask_b32_e32 v0, v5, v0, vcc
	v_cmp_eq_u32_e32 vcc, s11, v11
	v_lshrrev_b32_e32 v4, 16, v4
	v_cndmask_b32_e32 v2, v2, v3, vcc
	v_and_or_b32 v0, v1, s14, v0
	v_and_or_b32 v1, v4, s14, v2
	v_and_b32_e32 v0, 0xffff, v0
	v_lshl_or_b32 v2, v1, 16, v0
	v_add_co_u32_e32 v0, vcc, s6, v8
	v_addc_co_u32_e32 v1, vcc, v9, v7, vcc
	global_store_dword v[0:1], v2, off
.LBB0_23:
	s_endpgm
	.section	.rodata,"a",@progbits
	.p2align	6, 0x0
	.amdhsa_kernel bluestein_single_fwd_len1365_dim1_half_op_CI_CI
		.amdhsa_group_segment_fixed_size 10920
		.amdhsa_private_segment_fixed_size 0
		.amdhsa_kernarg_size 104
		.amdhsa_user_sgpr_count 6
		.amdhsa_user_sgpr_private_segment_buffer 1
		.amdhsa_user_sgpr_dispatch_ptr 0
		.amdhsa_user_sgpr_queue_ptr 0
		.amdhsa_user_sgpr_kernarg_segment_ptr 1
		.amdhsa_user_sgpr_dispatch_id 0
		.amdhsa_user_sgpr_flat_scratch_init 0
		.amdhsa_user_sgpr_private_segment_size 0
		.amdhsa_uses_dynamic_stack 0
		.amdhsa_system_sgpr_private_segment_wavefront_offset 0
		.amdhsa_system_sgpr_workgroup_id_x 1
		.amdhsa_system_sgpr_workgroup_id_y 0
		.amdhsa_system_sgpr_workgroup_id_z 0
		.amdhsa_system_sgpr_workgroup_info 0
		.amdhsa_system_vgpr_workitem_id 0
		.amdhsa_next_free_vgpr 221
		.amdhsa_next_free_sgpr 34
		.amdhsa_reserve_vcc 1
		.amdhsa_reserve_flat_scratch 0
		.amdhsa_float_round_mode_32 0
		.amdhsa_float_round_mode_16_64 0
		.amdhsa_float_denorm_mode_32 3
		.amdhsa_float_denorm_mode_16_64 3
		.amdhsa_dx10_clamp 1
		.amdhsa_ieee_mode 1
		.amdhsa_fp16_overflow 0
		.amdhsa_exception_fp_ieee_invalid_op 0
		.amdhsa_exception_fp_denorm_src 0
		.amdhsa_exception_fp_ieee_div_zero 0
		.amdhsa_exception_fp_ieee_overflow 0
		.amdhsa_exception_fp_ieee_underflow 0
		.amdhsa_exception_fp_ieee_inexact 0
		.amdhsa_exception_int_div_zero 0
	.end_amdhsa_kernel
	.text
.Lfunc_end0:
	.size	bluestein_single_fwd_len1365_dim1_half_op_CI_CI, .Lfunc_end0-bluestein_single_fwd_len1365_dim1_half_op_CI_CI
                                        ; -- End function
	.section	.AMDGPU.csdata,"",@progbits
; Kernel info:
; codeLenInByte = 40152
; NumSgprs: 38
; NumVgprs: 221
; ScratchSize: 0
; MemoryBound: 0
; FloatMode: 240
; IeeeMode: 1
; LDSByteSize: 10920 bytes/workgroup (compile time only)
; SGPRBlocks: 4
; VGPRBlocks: 55
; NumSGPRsForWavesPerEU: 38
; NumVGPRsForWavesPerEU: 221
; Occupancy: 1
; WaveLimiterHint : 1
; COMPUTE_PGM_RSRC2:SCRATCH_EN: 0
; COMPUTE_PGM_RSRC2:USER_SGPR: 6
; COMPUTE_PGM_RSRC2:TRAP_HANDLER: 0
; COMPUTE_PGM_RSRC2:TGID_X_EN: 1
; COMPUTE_PGM_RSRC2:TGID_Y_EN: 0
; COMPUTE_PGM_RSRC2:TGID_Z_EN: 0
; COMPUTE_PGM_RSRC2:TIDIG_COMP_CNT: 0
	.type	__hip_cuid_407f34177e4e7bb3,@object ; @__hip_cuid_407f34177e4e7bb3
	.section	.bss,"aw",@nobits
	.globl	__hip_cuid_407f34177e4e7bb3
__hip_cuid_407f34177e4e7bb3:
	.byte	0                               ; 0x0
	.size	__hip_cuid_407f34177e4e7bb3, 1

	.ident	"AMD clang version 19.0.0git (https://github.com/RadeonOpenCompute/llvm-project roc-6.4.0 25133 c7fe45cf4b819c5991fe208aaa96edf142730f1d)"
	.section	".note.GNU-stack","",@progbits
	.addrsig
	.addrsig_sym __hip_cuid_407f34177e4e7bb3
	.amdgpu_metadata
---
amdhsa.kernels:
  - .args:
      - .actual_access:  read_only
        .address_space:  global
        .offset:         0
        .size:           8
        .value_kind:     global_buffer
      - .actual_access:  read_only
        .address_space:  global
        .offset:         8
        .size:           8
        .value_kind:     global_buffer
      - .actual_access:  read_only
        .address_space:  global
        .offset:         16
        .size:           8
        .value_kind:     global_buffer
      - .actual_access:  read_only
        .address_space:  global
        .offset:         24
        .size:           8
        .value_kind:     global_buffer
      - .actual_access:  read_only
        .address_space:  global
        .offset:         32
        .size:           8
        .value_kind:     global_buffer
      - .offset:         40
        .size:           8
        .value_kind:     by_value
      - .address_space:  global
        .offset:         48
        .size:           8
        .value_kind:     global_buffer
      - .address_space:  global
        .offset:         56
        .size:           8
        .value_kind:     global_buffer
      - .address_space:  global
        .offset:         64
        .size:           8
        .value_kind:     global_buffer
      - .address_space:  global
        .offset:         72
        .size:           8
        .value_kind:     global_buffer
      - .offset:         80
        .size:           4
        .value_kind:     by_value
      - .address_space:  global
        .offset:         88
        .size:           8
        .value_kind:     global_buffer
      - .address_space:  global
        .offset:         96
        .size:           8
        .value_kind:     global_buffer
    .group_segment_fixed_size: 10920
    .kernarg_segment_align: 8
    .kernarg_segment_size: 104
    .language:       OpenCL C
    .language_version:
      - 2
      - 0
    .max_flat_workgroup_size: 182
    .name:           bluestein_single_fwd_len1365_dim1_half_op_CI_CI
    .private_segment_fixed_size: 0
    .sgpr_count:     38
    .sgpr_spill_count: 0
    .symbol:         bluestein_single_fwd_len1365_dim1_half_op_CI_CI.kd
    .uniform_work_group_size: 1
    .uses_dynamic_stack: false
    .vgpr_count:     221
    .vgpr_spill_count: 0
    .wavefront_size: 64
amdhsa.target:   amdgcn-amd-amdhsa--gfx906
amdhsa.version:
  - 1
  - 2
...

	.end_amdgpu_metadata
